;; amdgpu-corpus repo=ROCm/rocFFT kind=compiled arch=gfx1201 opt=O3
	.text
	.amdgcn_target "amdgcn-amd-amdhsa--gfx1201"
	.amdhsa_code_object_version 6
	.protected	bluestein_single_back_len99_dim1_sp_op_CI_CI ; -- Begin function bluestein_single_back_len99_dim1_sp_op_CI_CI
	.globl	bluestein_single_back_len99_dim1_sp_op_CI_CI
	.p2align	8
	.type	bluestein_single_back_len99_dim1_sp_op_CI_CI,@function
bluestein_single_back_len99_dim1_sp_op_CI_CI: ; @bluestein_single_back_len99_dim1_sp_op_CI_CI
; %bb.0:
	s_load_b128 s[8:11], s[0:1], 0x28
	v_mul_u32_u24_e32 v1, 0x1746, v0
	s_mov_b32 s2, exec_lo
	s_delay_alu instid0(VALU_DEP_1) | instskip(NEXT) | instid1(VALU_DEP_1)
	v_lshrrev_b32_e32 v1, 16, v1
	v_mad_co_u64_u32 v[52:53], null, ttmp9, 20, v[1:2]
	v_mov_b32_e32 v53, 0
                                        ; kill: def $vgpr2 killed $sgpr0 killed $exec
	s_wait_kmcnt 0x0
	s_delay_alu instid0(VALU_DEP_1)
	v_cmpx_gt_u64_e64 s[8:9], v[52:53]
	s_cbranch_execz .LBB0_10
; %bb.1:
	s_load_b128 s[4:7], s[0:1], 0x18
	v_mul_lo_u16 v1, v1, 11
	v_mul_hi_u32 v20, 0xcccccccd, v52
                                        ; implicit-def: $vgpr73
	s_delay_alu instid0(VALU_DEP_2) | instskip(NEXT) | instid1(VALU_DEP_2)
	v_sub_nc_u16 v12, v0, v1
	v_lshrrev_b32_e32 v20, 4, v20
	s_delay_alu instid0(VALU_DEP_2) | instskip(SKIP_1) | instid1(VALU_DEP_3)
	v_and_b32_e32 v75, 0xffff, v12
	v_mul_lo_u16 v22, v12, 3
	v_mul_lo_u32 v20, v20, 20
	s_delay_alu instid0(VALU_DEP_3) | instskip(NEXT) | instid1(VALU_DEP_3)
	v_add_co_u32 v23, null, v75, 11
	v_and_b32_e32 v25, 0xffff, v22
	s_wait_kmcnt 0x0
	s_load_b128 s[12:15], s[4:5], 0x0
	s_delay_alu instid0(VALU_DEP_2) | instskip(SKIP_2) | instid1(VALU_DEP_2)
	v_mul_u32_u24_e32 v27, 3, v23
	v_and_b32_e32 v22, 0xff, v23
	v_sub_nc_u32_e32 v20, v52, v20
	v_mul_lo_u16 v22, 0xab, v22
	s_delay_alu instid0(VALU_DEP_2) | instskip(NEXT) | instid1(VALU_DEP_2)
	v_mul_u32_u24_e32 v20, 0x63, v20
	v_lshrrev_b16 v29, 9, v22
	s_delay_alu instid0(VALU_DEP_2)
	v_lshlrev_b32_e32 v77, 3, v20
	s_wait_kmcnt 0x0
	v_mad_co_u64_u32 v[0:1], null, s14, v52, 0
	v_mad_co_u64_u32 v[2:3], null, s12, v75, 0
	s_mul_u64 s[2:3], s[12:13], 0x108
	s_mul_i32 s4, s13, 0xfffffe48
	s_delay_alu instid0(SALU_CYCLE_1) | instskip(NEXT) | instid1(VALU_DEP_1)
	s_sub_co_i32 s4, s4, s12
	v_mad_co_u64_u32 v[4:5], null, s15, v52, v[1:2]
	s_delay_alu instid0(VALU_DEP_1) | instskip(SKIP_1) | instid1(VALU_DEP_1)
	v_mad_co_u64_u32 v[5:6], null, s13, v75, v[3:4]
	v_mov_b32_e32 v1, v4
	v_lshlrev_b64_e32 v[0:1], 3, v[0:1]
	s_delay_alu instid0(VALU_DEP_3) | instskip(NEXT) | instid1(VALU_DEP_2)
	v_mov_b32_e32 v3, v5
	v_add_co_u32 v0, vcc_lo, s10, v0
	s_delay_alu instid0(VALU_DEP_2) | instskip(NEXT) | instid1(VALU_DEP_4)
	v_lshlrev_b64_e32 v[2:3], 3, v[2:3]
	v_add_co_ci_u32_e32 v1, vcc_lo, s11, v1, vcc_lo
	s_load_b128 s[8:11], s[0:1], 0x0
	s_delay_alu instid0(VALU_DEP_2) | instskip(SKIP_1) | instid1(VALU_DEP_2)
	v_add_co_u32 v0, vcc_lo, v0, v2
	s_wait_alu 0xfffd
	v_add_co_ci_u32_e32 v1, vcc_lo, v1, v3, vcc_lo
	s_delay_alu instid0(VALU_DEP_2) | instskip(SKIP_1) | instid1(VALU_DEP_2)
	v_add_co_u32 v2, vcc_lo, v0, s2
	s_wait_alu 0xfffd
	v_add_co_ci_u32_e32 v3, vcc_lo, s3, v1, vcc_lo
	global_load_b64 v[0:1], v[0:1], off
	v_add_co_u32 v4, vcc_lo, v2, s2
	s_wait_alu 0xfffd
	v_add_co_ci_u32_e32 v5, vcc_lo, s3, v3, vcc_lo
	v_lshlrev_b32_e32 v13, 3, v75
	s_delay_alu instid0(VALU_DEP_2) | instskip(NEXT) | instid1(VALU_DEP_1)
	v_mad_co_u64_u32 v[6:7], null, 0xfffffe48, s12, v[4:5]
	v_add_nc_u32_e32 v7, s4, v7
	s_delay_alu instid0(VALU_DEP_2) | instskip(SKIP_1) | instid1(VALU_DEP_2)
	v_add_co_u32 v8, vcc_lo, v6, s2
	s_wait_alu 0xfffd
	v_add_co_ci_u32_e32 v9, vcc_lo, s3, v7, vcc_lo
	s_delay_alu instid0(VALU_DEP_2) | instskip(SKIP_1) | instid1(VALU_DEP_2)
	v_add_co_u32 v10, vcc_lo, v8, s2
	s_wait_alu 0xfffd
	v_add_co_ci_u32_e32 v11, vcc_lo, s3, v9, vcc_lo
	s_delay_alu instid0(VALU_DEP_1) | instskip(NEXT) | instid1(VALU_DEP_1)
	v_mad_co_u64_u32 v[14:15], null, 0xfffffe48, s12, v[10:11]
	v_add_nc_u32_e32 v15, s4, v15
	s_delay_alu instid0(VALU_DEP_2) | instskip(SKIP_1) | instid1(VALU_DEP_2)
	v_add_co_u32 v16, vcc_lo, v14, s2
	s_wait_alu 0xfffd
	v_add_co_ci_u32_e32 v17, vcc_lo, s3, v15, vcc_lo
	s_delay_alu instid0(VALU_DEP_2) | instskip(SKIP_1) | instid1(VALU_DEP_2)
	v_add_co_u32 v18, vcc_lo, v16, s2
	s_wait_alu 0xfffd
	v_add_co_ci_u32_e32 v19, vcc_lo, s3, v17, vcc_lo
	s_load_b64 s[2:3], s[0:1], 0x38
	s_wait_kmcnt 0x0
	s_clause 0x1
	global_load_b64 v[63:64], v13, s[8:9]
	global_load_b64 v[65:66], v13, s[8:9] offset:264
	v_cmp_gt_u16_e32 vcc_lo, 9, v12
	s_wait_loadcnt 0x1
	v_mul_f32_e32 v20, v1, v64
	global_load_b64 v[2:3], v[2:3], off
	global_load_b64 v[67:68], v13, s[8:9] offset:528
	v_and_b32_e32 v21, 0xff, v12
	v_mul_f32_e32 v32, v0, v64
	v_add_co_u32 v71, s0, s8, v13
	v_fmac_f32_e32 v20, v0, v63
	s_delay_alu instid0(VALU_DEP_4) | instskip(SKIP_2) | instid1(VALU_DEP_2)
	v_mul_lo_u16 v21, 0xab, v21
	s_wait_alu 0xf1ff
	v_add_co_ci_u32_e64 v72, null, s9, 0, s0
	v_lshrrev_b16 v26, 9, v21
	s_delay_alu instid0(VALU_DEP_1) | instskip(NEXT) | instid1(VALU_DEP_1)
	v_mul_lo_u16 v28, v26, 3
	v_sub_nc_u16 v28, v12, v28
	s_delay_alu instid0(VALU_DEP_1) | instskip(SKIP_3) | instid1(VALU_DEP_2)
	v_mad_u16 v12, v26, 9, v28
	s_wait_loadcnt 0x1
	v_mul_f32_e32 v22, v3, v66
	v_add_co_u32 v24, null, v75, 22
	v_fmac_f32_e32 v22, v2, v65
	global_load_b64 v[4:5], v[4:5], off
	global_load_b64 v[69:70], v13, s[8:9] offset:88
	global_load_b64 v[6:7], v[6:7], off
	s_clause 0x2
	global_load_b64 v[57:58], v13, s[8:9] offset:352
	global_load_b64 v[55:56], v13, s[8:9] offset:616
	;; [unrolled: 1-line block ×3, first 2 shown]
	global_load_b64 v[8:9], v[8:9], off
	global_load_b64 v[10:11], v[10:11], off
	v_and_b32_e32 v21, 0xff, v24
	v_mul_u32_u24_e32 v30, 3, v24
	s_delay_alu instid0(VALU_DEP_2) | instskip(NEXT) | instid1(VALU_DEP_1)
	v_mul_lo_u16 v21, 0xab, v21
	v_lshrrev_b16 v31, 9, v21
	v_mul_lo_u16 v21, v29, 3
	s_delay_alu instid0(VALU_DEP_1) | instskip(SKIP_2) | instid1(VALU_DEP_1)
	v_sub_nc_u16 v33, v23, v21
	v_fma_f32 v21, v1, v63, -v32
	v_mul_f32_e32 v1, v2, v66
	v_fma_f32 v23, v3, v65, -v1
	s_wait_loadcnt 0x7
	v_mul_f32_e32 v0, v5, v68
	global_load_b64 v[14:15], v[14:15], off
	s_wait_loadcnt 0x6
	v_mul_f32_e32 v2, v7, v70
	global_load_b64 v[59:60], v13, s[8:9] offset:440
	global_load_b64 v[16:17], v[16:17], off
	global_load_b64 v[61:62], v13, s[8:9] offset:704
	global_load_b64 v[18:19], v[18:19], off
	v_mul_f32_e32 v32, v4, v68
	v_fmac_f32_e32 v0, v4, v67
	v_dual_mul_f32 v3, v6, v70 :: v_dual_add_nc_u32 v76, v13, v77
	s_wait_loadcnt 0x6
	v_mul_f32_e32 v4, v9, v58
	v_fma_f32 v1, v5, v67, -v32
	v_dual_fmac_f32 v2, v6, v69 :: v_dual_mul_f32 v5, v8, v58
	s_wait_loadcnt 0x5
	v_mul_f32_e32 v6, v11, v56
	v_fma_f32 v3, v7, v69, -v3
	v_dual_mul_f32 v7, v10, v56 :: v_dual_fmac_f32 v4, v8, v57
	v_fma_f32 v5, v9, v57, -v5
	s_delay_alu instid0(VALU_DEP_4) | instskip(SKIP_1) | instid1(VALU_DEP_3)
	v_fmac_f32_e32 v6, v10, v55
	s_load_b128 s[4:7], s[6:7], 0x0
	v_fma_f32 v7, v11, v55, -v7
	v_lshl_add_u32 v81, v27, 3, v77
	v_lshl_add_u32 v79, v30, 3, v77
	;; [unrolled: 1-line block ×3, first 2 shown]
	s_wait_loadcnt 0x2
	v_mul_f32_e32 v10, v17, v60
	v_dual_mul_f32 v8, v15, v54 :: v_dual_mul_f32 v11, v16, v60
	v_mul_f32_e32 v9, v14, v54
	s_wait_loadcnt 0x0
	v_mul_f32_e32 v32, v18, v62
	v_fmac_f32_e32 v10, v16, v59
	v_fmac_f32_e32 v8, v14, v53
	v_mul_f32_e32 v14, v19, v62
	v_fma_f32 v9, v15, v53, -v9
	v_fma_f32 v11, v17, v59, -v11
	v_fma_f32 v15, v19, v61, -v32
	v_mul_lo_u16 v19, v31, 3
	v_fmac_f32_e32 v14, v18, v61
	ds_store_b64 v76, v[22:23] offset:264
	ds_store_b64 v76, v[0:1] offset:528
	ds_store_2addr_b64 v76, v[20:21], v[2:3] offset1:11
	ds_store_b64 v76, v[8:9] offset:176
	ds_store_2addr_b64 v76, v[4:5], v[10:11] offset0:44 offset1:55
	ds_store_2addr_b64 v76, v[6:7], v[14:15] offset0:77 offset1:88
	global_wb scope:SCOPE_SE
	s_wait_dscnt 0x0
	s_wait_kmcnt 0x0
	s_barrier_signal -1
	s_barrier_wait -1
	global_inv scope:SCOPE_SE
	ds_load_2addr_b64 v[0:3], v76 offset1:11
	ds_load_2addr_b64 v[4:7], v76 offset0:22 offset1:33
	ds_load_2addr_b64 v[8:11], v76 offset0:66 offset1:77
	v_lshlrev_b16 v18, 1, v28
	ds_load_2addr_b64 v[14:17], v76 offset0:44 offset1:55
	v_sub_nc_u16 v21, v24, v19
	v_lshlrev_b16 v20, 1, v33
	v_and_b32_e32 v18, 0xfe, v18
	s_delay_alu instid0(VALU_DEP_3) | instskip(SKIP_1) | instid1(VALU_DEP_3)
	v_and_b32_e32 v23, 0xff, v21
	s_wait_dscnt 0x2
	v_dual_add_f32 v27, v1, v7 :: v_dual_and_b32 v20, 0xfe, v20
	s_delay_alu instid0(VALU_DEP_3)
	v_lshlrev_b32_e32 v22, 3, v18
	ds_load_b64 v[18:19], v76 offset:704
	s_wait_dscnt 0x1
	v_add_f32_e32 v37, v3, v15
	v_dual_add_f32 v41, v5, v17 :: v_dual_sub_f32 v32, v6, v8
	v_sub_f32_e32 v36, v15, v11
	v_add_f32_e32 v15, v15, v11
	v_add_f32_e32 v30, v7, v9
	;; [unrolled: 1-line block ×3, first 2 shown]
	v_dual_add_f32 v35, v14, v10 :: v_dual_lshlrev_b32 v20, 3, v20
	s_delay_alu instid0(VALU_DEP_4) | instskip(NEXT) | instid1(VALU_DEP_4)
	v_fmac_f32_e32 v3, -0.5, v15
	v_fma_f32 v1, -0.5, v30, v1
	v_sub_f32_e32 v25, v7, v9
	v_add_f32_e32 v7, v27, v9
	v_add_f32_e32 v9, v37, v11
	;; [unrolled: 1-line block ×3, first 2 shown]
	v_fma_f32 v0, -0.5, v24, v0
	global_wb scope:SCOPE_SE
	s_wait_dscnt 0x0
	s_barrier_signal -1
	s_barrier_wait -1
	v_add_f32_e32 v39, v16, v18
	v_dual_add_f32 v11, v41, v19 :: v_dual_sub_f32 v38, v14, v10
	v_fmamk_f32 v15, v32, 0xbf5db3d7, v1
	v_dual_fmac_f32 v1, 0x3f5db3d7, v32 :: v_dual_sub_f32 v40, v17, v19
	v_dual_add_f32 v17, v17, v19 :: v_dual_add_f32 v34, v2, v14
	v_add_f32_e32 v14, v4, v16
	v_fma_f32 v2, -0.5, v35, v2
	v_sub_f32_e32 v42, v16, v18
	v_fma_f32 v4, -0.5, v39, v4
	v_dual_fmac_f32 v5, -0.5, v17 :: v_dual_add_f32 v6, v21, v8
	v_add_f32_e32 v8, v34, v10
	v_fmamk_f32 v17, v38, 0xbf5db3d7, v3
	v_add_f32_e32 v10, v14, v18
	v_fmamk_f32 v14, v25, 0x3f5db3d7, v0
	v_fmac_f32_e32 v0, 0xbf5db3d7, v25
	v_fmamk_f32 v16, v36, 0x3f5db3d7, v2
	v_fmac_f32_e32 v2, 0xbf5db3d7, v36
	v_dual_fmac_f32 v3, 0x3f5db3d7, v38 :: v_dual_fmamk_f32 v18, v40, 0x3f5db3d7, v4
	v_fmamk_f32 v19, v42, 0xbf5db3d7, v5
	global_inv scope:SCOPE_SE
	v_fmac_f32_e32 v4, 0xbf5db3d7, v40
	v_fmac_f32_e32 v5, 0x3f5db3d7, v42
	ds_store_2addr_b64 v82, v[6:7], v[14:15] offset1:1
	ds_store_b64 v82, v[0:1] offset:16
	ds_store_2addr_b64 v81, v[8:9], v[16:17] offset1:1
	ds_store_b64 v81, v[2:3] offset:16
	;; [unrolled: 2-line block ×3, first 2 shown]
	v_lshlrev_b32_e32 v0, 4, v23
	global_wb scope:SCOPE_SE
	s_wait_dscnt 0x0
	s_barrier_signal -1
	s_barrier_wait -1
	global_inv scope:SCOPE_SE
	s_clause 0x2
	global_load_b128 v[8:11], v22, s[10:11]
	global_load_b128 v[4:7], v20, s[10:11]
	;; [unrolled: 1-line block ×3, first 2 shown]
	ds_load_2addr_b64 v[18:21], v76 offset0:44 offset1:55
	v_and_b32_e32 v14, 0xffff, v31
	ds_load_2addr_b64 v[36:39], v76 offset0:22 offset1:33
	v_mad_u16 v22, v29, 9, v33
	ds_load_2addr_b64 v[40:43], v76 offset1:11
	v_and_b32_e32 v25, 0xff, v22
	s_delay_alu instid0(VALU_DEP_1)
	v_lshl_add_u32 v80, v25, 3, v77
	s_wait_loadcnt_dscnt 0x201
	v_mul_f32_e32 v13, v38, v9
	s_wait_loadcnt 0x0
	v_mul_f32_e32 v31, v20, v1
	v_mul_f32_e32 v27, v18, v5
	;; [unrolled: 1-line block ×3, first 2 shown]
	v_fmac_f32_e32 v13, v39, v8
	s_delay_alu instid0(VALU_DEP_4)
	v_fmac_f32_e32 v31, v21, v0
	v_mul_u32_u24_e32 v24, 9, v14
	ds_load_2addr_b64 v[14:17], v76 offset0:66 offset1:77
	v_fmac_f32_e32 v27, v19, v4
	s_wait_dscnt 0x0
	v_mul_f32_e32 v25, v14, v11
	v_mul_f32_e32 v29, v16, v7
	s_delay_alu instid0(VALU_DEP_2)
	v_dual_fmac_f32 v25, v15, v10 :: v_dual_add_nc_u32 v24, v24, v23
	ds_load_b64 v[22:23], v76 offset:704
	v_dual_fmac_f32 v29, v17, v6 :: v_dual_and_b32 v12, 0xff, v12
	v_mul_f32_e32 v28, v17, v7
	v_lshl_add_u32 v78, v24, 3, v77
	global_wb scope:SCOPE_SE
	s_wait_dscnt 0x0
	s_barrier_signal -1
	s_barrier_wait -1
	v_fma_f32 v16, v16, v6, -v28
	v_mul_f32_e32 v30, v21, v1
	v_sub_f32_e32 v21, v13, v25
	v_lshl_add_u32 v83, v12, 3, v77
	v_dual_mul_f32 v12, v39, v9 :: v_dual_add_f32 v39, v37, v31
	global_inv scope:SCOPE_SE
	v_fma_f32 v12, v38, v8, -v12
	v_mul_f32_e32 v24, v15, v11
	v_fma_f32 v15, v18, v4, -v26
	s_delay_alu instid0(VALU_DEP_3) | instskip(NEXT) | instid1(VALU_DEP_3)
	v_dual_mul_f32 v32, v23, v3 :: v_dual_add_f32 v19, v40, v12
	v_fma_f32 v14, v14, v10, -v24
	s_delay_alu instid0(VALU_DEP_2) | instskip(SKIP_1) | instid1(VALU_DEP_1)
	v_fma_f32 v18, v22, v2, -v32
	v_mul_f32_e32 v34, v22, v3
	v_fmac_f32_e32 v34, v23, v2
	v_add_f32_e32 v22, v41, v13
	v_add_f32_e32 v13, v13, v25
	;; [unrolled: 1-line block ×3, first 2 shown]
	s_delay_alu instid0(VALU_DEP_4) | instskip(NEXT) | instid1(VALU_DEP_3)
	v_add_f32_e32 v49, v39, v34
	v_fma_f32 v45, -0.5, v13, v41
	v_add_f32_e32 v28, v43, v27
	v_add_f32_e32 v24, v15, v16
	v_sub_f32_e32 v15, v15, v16
	v_fma_f32 v17, v20, v0, -v30
	v_sub_f32_e32 v38, v31, v34
	v_add_f32_e32 v31, v31, v34
	v_dual_add_f32 v20, v12, v14 :: v_dual_add_f32 v33, v22, v25
	v_sub_f32_e32 v26, v27, v29
	v_add_f32_e32 v27, v27, v29
	s_delay_alu instid0(VALU_DEP_4) | instskip(SKIP_4) | instid1(VALU_DEP_4)
	v_dual_fmac_f32 v37, -0.5, v31 :: v_dual_sub_f32 v12, v12, v14
	v_dual_add_f32 v35, v17, v18 :: v_dual_add_f32 v30, v36, v17
	v_sub_f32_e32 v17, v17, v18
	v_fma_f32 v44, -0.5, v20, v40
	v_fmac_f32_e32 v43, -0.5, v27
	v_fma_f32 v36, -0.5, v35, v36
	v_fmamk_f32 v35, v12, 0xbf5db3d7, v45
	v_add_f32_e32 v47, v28, v29
	v_fma_f32 v42, -0.5, v24, v42
	v_add_f32_e32 v32, v19, v14
	v_dual_add_f32 v46, v23, v16 :: v_dual_fmamk_f32 v51, v17, 0xbf5db3d7, v37
	v_dual_add_f32 v48, v30, v18 :: v_dual_fmamk_f32 v41, v15, 0xbf5db3d7, v43
	v_dual_fmamk_f32 v34, v21, 0x3f5db3d7, v44 :: v_dual_fmac_f32 v37, 0x3f5db3d7, v17
	v_fmac_f32_e32 v44, 0xbf5db3d7, v21
	v_dual_fmac_f32 v45, 0x3f5db3d7, v12 :: v_dual_fmamk_f32 v40, v26, 0x3f5db3d7, v42
	v_fmac_f32_e32 v42, 0xbf5db3d7, v26
	v_dual_fmac_f32 v43, 0x3f5db3d7, v15 :: v_dual_fmamk_f32 v50, v38, 0x3f5db3d7, v36
	v_fmac_f32_e32 v36, 0xbf5db3d7, v38
	ds_store_2addr_b64 v83, v[32:33], v[34:35] offset1:3
	ds_store_b64 v83, v[44:45] offset:48
	ds_store_2addr_b64 v80, v[46:47], v[40:41] offset1:3
	ds_store_b64 v80, v[42:43] offset:48
	;; [unrolled: 2-line block ×3, first 2 shown]
	global_wb scope:SCOPE_SE
	s_wait_dscnt 0x0
	s_barrier_signal -1
	s_barrier_wait -1
	global_inv scope:SCOPE_SE
	s_and_saveexec_b32 s0, vcc_lo
	s_cbranch_execz .LBB0_3
; %bb.2:
	ds_load_2addr_b64 v[32:35], v76 offset1:9
	ds_load_2addr_b64 v[44:47], v76 offset0:18 offset1:27
	ds_load_2addr_b64 v[40:43], v76 offset0:36 offset1:45
	;; [unrolled: 1-line block ×4, first 2 shown]
	ds_load_b64 v[73:74], v76 offset:720
.LBB0_3:
	s_wait_alu 0xfffe
	s_or_b32 exec_lo, exec_lo, s0
	v_add_nc_u32_e32 v12, -9, v75
	s_delay_alu instid0(VALU_DEP_1) | instskip(NEXT) | instid1(VALU_DEP_1)
	v_cndmask_b32_e32 v12, v12, v75, vcc_lo
	v_mul_i32_i24_e32 v13, 0x50, v12
	v_mul_hi_i32_i24_e32 v12, 0x50, v12
	s_delay_alu instid0(VALU_DEP_2) | instskip(SKIP_1) | instid1(VALU_DEP_2)
	v_add_co_u32 v28, s0, s10, v13
	s_wait_alu 0xf1ff
	v_add_co_ci_u32_e64 v29, s0, s11, v12, s0
	s_clause 0x4
	global_load_b128 v[24:27], v[28:29], off offset:48
	global_load_b128 v[20:23], v[28:29], off offset:64
	;; [unrolled: 1-line block ×5, first 2 shown]
	s_wait_loadcnt_dscnt 0x405
	v_mul_f32_e32 v91, v35, v25
	s_wait_loadcnt_dscnt 0x304
	v_dual_mul_f32 v93, v47, v21 :: v_dual_mul_f32 v92, v45, v27
	s_wait_loadcnt_dscnt 0x203
	v_dual_mul_f32 v101, v43, v13 :: v_dual_mul_f32 v96, v44, v27
	s_wait_dscnt 0x2
	v_dual_mul_f32 v89, v42, v13 :: v_dual_mul_f32 v102, v49, v15
	s_wait_loadcnt 0x1
	v_dual_mul_f32 v87, v50, v17 :: v_dual_mul_f32 v88, v48, v15
	s_wait_loadcnt_dscnt 0x1
	v_dual_mul_f32 v105, v39, v29 :: v_dual_mul_f32 v104, v37, v19
	v_mul_f32_e32 v85, v38, v29
	s_wait_dscnt 0x0
	v_mul_f32_e32 v106, v74, v31
	v_dual_mul_f32 v98, v34, v25 :: v_dual_mul_f32 v95, v41, v23
	v_dual_mul_f32 v90, v40, v23 :: v_dual_mul_f32 v103, v51, v17
	v_dual_mul_f32 v86, v36, v19 :: v_dual_fmac_f32 v87, v51, v16
	v_fma_f32 v100, v34, v24, -v91
	v_fma_f32 v99, v44, v26, -v92
	v_fmac_f32_e32 v88, v49, v14
	v_fma_f32 v49, v38, v28, -v105
	v_dual_fmac_f32 v96, v45, v26 :: v_dual_fmac_f32 v85, v39, v28
	v_fma_f32 v45, v73, v30, -v106
	v_mul_f32_e32 v84, v73, v31
	v_dual_mul_f32 v94, v46, v21 :: v_dual_fmac_f32 v89, v43, v12
	v_fmac_f32_e32 v98, v35, v24
	v_fma_f32 v97, v46, v20, -v93
	v_fma_f32 v93, v42, v12, -v101
	;; [unrolled: 1-line block ×5, first 2 shown]
	v_dual_sub_f32 v115, v100, v45 :: v_dual_fmac_f32 v84, v74, v30
	v_fmac_f32_e32 v94, v47, v20
	v_dual_fmac_f32 v86, v37, v18 :: v_dual_add_f32 v35, v99, v49
	s_delay_alu instid0(VALU_DEP_3)
	v_mul_f32_e32 v107, 0xbf0a6770, v115
	v_add_f32_e32 v37, v96, v85
	v_dual_sub_f32 v110, v96, v85 :: v_dual_sub_f32 v127, v93, v92
	v_dual_sub_f32 v125, v97, v50 :: v_dual_sub_f32 v122, v99, v49
	v_sub_f32_e32 v113, v94, v86
	v_add_f32_e32 v47, v93, v92
	s_delay_alu instid0(VALU_DEP_4) | instskip(NEXT) | instid1(VALU_DEP_4)
	v_dual_add_f32 v36, v98, v84 :: v_dual_mul_f32 v103, 0xbf68dda4, v110
	v_dual_sub_f32 v108, v98, v84 :: v_dual_mul_f32 v121, 0xbf4178ce, v122
	v_fmac_f32_e32 v90, v41, v22
	v_mul_f32_e32 v106, 0xbf68dda4, v122
	s_delay_alu instid0(VALU_DEP_4) | instskip(NEXT) | instid1(VALU_DEP_4)
	v_fma_f32 v41, 0x3f575c64, v36, -v107
	v_mul_f32_e32 v120, 0xbf68dda4, v108
	v_fma_f32 v95, v40, v22, -v95
	v_dual_add_f32 v34, v100, v45 :: v_dual_add_f32 v39, v94, v86
	v_fma_f32 v129, 0x3ed4b147, v37, -v106
	v_dual_add_f32 v41, v33, v41 :: v_dual_mul_f32 v124, 0xbf68dda4, v115
	s_delay_alu instid0(VALU_DEP_4) | instskip(SKIP_1) | instid1(VALU_DEP_3)
	v_dual_add_f32 v44, v95, v91 :: v_dual_mul_f32 v119, 0x3e903f40, v125
	v_mul_f32_e32 v105, 0xbf0a6770, v108
	v_add_f32_e32 v41, v129, v41
	s_delay_alu instid0(VALU_DEP_4)
	v_fma_f32 v43, 0x3ed4b147, v36, -v124
	v_dual_sub_f32 v111, v90, v87 :: v_dual_sub_f32 v112, v89, v88
	v_mul_f32_e32 v123, 0x3f0a6770, v127
	v_sub_f32_e32 v126, v95, v91
	v_fma_f32 v131, 0xbf27a4f4, v37, -v121
	v_add_f32_e32 v43, v33, v43
	v_dual_mul_f32 v51, 0xbe903f40, v112 :: v_dual_add_f32 v46, v90, v87
	s_delay_alu instid0(VALU_DEP_4) | instskip(NEXT) | instid1(VALU_DEP_3)
	v_mul_f32_e32 v117, 0x3f7d64f0, v126
	v_dual_mul_f32 v118, 0xbf4178ce, v110 :: v_dual_add_f32 v43, v131, v43
	v_fma_f32 v139, 0xbf75a155, v39, -v119
	v_dual_add_f32 v48, v89, v88 :: v_dual_mul_f32 v73, 0xbf4178ce, v111
	v_mul_f32_e32 v104, 0xbf7d64f0, v125
	v_fma_f32 v141, 0xbe11bafb, v46, -v117
	s_delay_alu instid0(VALU_DEP_4) | instskip(SKIP_3) | instid1(VALU_DEP_4)
	v_dual_add_f32 v43, v139, v43 :: v_dual_mul_f32 v116, 0x3e903f40, v113
	v_fmamk_f32 v42, v34, 0x3ed4b147, v120
	v_fma_f32 v129, 0x3f575c64, v48, -v123
	v_dual_add_f32 v38, v97, v50 :: v_dual_mul_f32 v101, 0xbf7d64f0, v113
	v_dual_add_f32 v43, v141, v43 :: v_dual_fmamk_f32 v40, v34, 0x3f575c64, v105
	s_delay_alu instid0(VALU_DEP_4)
	v_dual_mul_f32 v109, 0x3f0a6770, v112 :: v_dual_add_f32 v42, v32, v42
	v_fmamk_f32 v128, v35, 0x3ed4b147, v103
	v_fmamk_f32 v130, v35, 0xbf27a4f4, v118
	v_fma_f32 v133, 0xbe11bafb, v39, -v104
	v_dual_mul_f32 v102, 0xbf4178ce, v126 :: v_dual_add_f32 v43, v129, v43
	v_add_f32_e32 v40, v32, v40
	s_delay_alu instid0(VALU_DEP_3) | instskip(NEXT) | instid1(VALU_DEP_3)
	v_dual_fmamk_f32 v132, v38, 0xbe11bafb, v101 :: v_dual_add_f32 v41, v133, v41
	v_fma_f32 v135, 0xbf27a4f4, v46, -v102
	v_mul_f32_e32 v114, 0x3f7d64f0, v111
	v_fmamk_f32 v138, v38, 0xbf75a155, v116
	v_add_f32_e32 v40, v128, v40
	s_delay_alu instid0(VALU_DEP_4)
	v_dual_add_f32 v42, v130, v42 :: v_dual_add_f32 v41, v135, v41
	v_mul_f32_e32 v74, 0xbe903f40, v127
	v_fmamk_f32 v134, v44, 0xbf27a4f4, v73
	v_fmamk_f32 v140, v44, 0xbe11bafb, v114
	v_add_f32_e32 v40, v132, v40
	v_add_f32_e32 v42, v138, v42
	v_fmamk_f32 v136, v47, 0xbf75a155, v51
	v_fma_f32 v137, 0xbf75a155, v48, -v74
	v_fmamk_f32 v128, v47, 0x3f575c64, v109
	v_add_f32_e32 v40, v134, v40
	s_delay_alu instid0(VALU_DEP_3) | instskip(NEXT) | instid1(VALU_DEP_2)
	v_dual_add_f32 v42, v140, v42 :: v_dual_add_f32 v41, v137, v41
	v_add_f32_e32 v40, v136, v40
	s_delay_alu instid0(VALU_DEP_2)
	v_add_f32_e32 v42, v128, v42
	s_and_saveexec_b32 s0, vcc_lo
	s_cbranch_execz .LBB0_5
; %bb.4:
	v_dual_mul_f32 v159, 0xbf4178ce, v115 :: v_dual_mul_f32 v160, 0xbf4178ce, v113
	v_mul_f32_e32 v148, 0xbf27a4f4, v46
	v_mul_f32_e32 v166, 0xbf7d64f0, v112
	;; [unrolled: 1-line block ×3, first 2 shown]
	s_delay_alu instid0(VALU_DEP_4)
	v_fmamk_f32 v161, v36, 0xbf27a4f4, v159
	v_mul_f32_e32 v154, 0xbe903f40, v108
	v_mul_f32_e32 v163, 0x3f68dda4, v111
	v_fma_f32 v168, 0xbe11bafb, v47, -v166
	v_dual_mul_f32 v139, 0xbf27a4f4, v35 :: v_dual_mul_f32 v140, 0xbf27a4f4, v37
	v_add_f32_e32 v161, v33, v161
	v_fma_f32 v130, 0xbf75a155, v34, -v154
	v_mul_f32_e32 v138, 0xbe903f40, v115
	v_mul_f32_e32 v115, 0xbf7d64f0, v115
	;; [unrolled: 1-line block ×5, first 2 shown]
	v_fmamk_f32 v128, v36, 0xbf75a155, v138
	v_mul_f32_e32 v143, 0x3f0a6770, v122
	v_mul_f32_e32 v156, 0x3f575c64, v48
	v_dual_fmamk_f32 v172, v36, 0xbe11bafb, v115 :: v_dual_add_f32 v121, v121, v140
	s_delay_alu instid0(VALU_DEP_4) | instskip(NEXT) | instid1(VALU_DEP_4)
	v_add_f32_e32 v128, v33, v128
	v_fmamk_f32 v129, v37, 0x3f575c64, v143
	v_mul_f32_e32 v147, 0xbf4178ce, v125
	v_dual_mul_f32 v122, 0x3e903f40, v122 :: v_dual_add_f32 v119, v119, v145
	s_delay_alu instid0(VALU_DEP_3) | instskip(NEXT) | instid1(VALU_DEP_3)
	v_dual_mul_f32 v167, 0xbe903f40, v126 :: v_dual_add_f32 v128, v129, v128
	v_dual_mul_f32 v146, 0xbf27a4f4, v44 :: v_dual_fmamk_f32 v129, v39, 0xbf27a4f4, v147
	v_mul_f32_e32 v151, 0x3f68dda4, v126
	s_delay_alu instid0(VALU_DEP_4) | instskip(SKIP_2) | instid1(VALU_DEP_4)
	v_fmamk_f32 v174, v37, 0xbf75a155, v122
	v_mul_f32_e32 v170, 0xbf0a6770, v113
	v_dual_mul_f32 v134, 0x3ed4b147, v34 :: v_dual_mul_f32 v135, 0x3ed4b147, v36
	v_dual_add_f32 v128, v129, v128 :: v_dual_fmamk_f32 v129, v46, 0x3ed4b147, v151
	v_mul_f32_e32 v155, 0x3f575c64, v47
	v_mul_f32_e32 v173, 0xbe903f40, v111
	;; [unrolled: 1-line block ×3, first 2 shown]
	v_dual_mul_f32 v132, 0x3f575c64, v34 :: v_dual_mul_f32 v133, 0x3f575c64, v36
	v_dual_add_f32 v128, v129, v128 :: v_dual_add_f32 v129, v32, v130
	v_fma_f32 v130, 0x3f575c64, v35, -v157
	v_mul_f32_e32 v152, 0xbf75a155, v47
	v_add_f32_e32 v172, v33, v172
	v_sub_f32_e32 v120, v134, v120
	v_dual_mul_f32 v136, 0x3ed4b147, v35 :: v_dual_mul_f32 v137, 0x3ed4b147, v37
	v_add_f32_e32 v129, v130, v129
	v_fma_f32 v130, 0xbf27a4f4, v38, -v160
	v_mul_f32_e32 v158, 0xbf7d64f0, v127
	v_dual_add_f32 v98, v33, v98 :: v_dual_sub_f32 v51, v152, v51
	v_dual_mul_f32 v144, 0xbf75a155, v38 :: v_dual_mul_f32 v153, 0xbf75a155, v48
	s_delay_alu instid0(VALU_DEP_4)
	v_add_f32_e32 v129, v130, v129
	v_fma_f32 v130, 0x3ed4b147, v44, -v163
	v_fmamk_f32 v131, v48, 0xbe11bafb, v158
	v_fmamk_f32 v164, v37, 0xbe11bafb, v162
	v_add_f32_e32 v120, v32, v120
	v_sub_f32_e32 v118, v139, v118
	s_delay_alu instid0(VALU_DEP_4) | instskip(NEXT) | instid1(VALU_DEP_4)
	v_dual_add_f32 v130, v130, v129 :: v_dual_add_f32 v129, v131, v128
	v_dual_add_f32 v161, v164, v161 :: v_dual_add_f32 v96, v98, v96
	s_delay_alu instid0(VALU_DEP_2) | instskip(SKIP_2) | instid1(VALU_DEP_4)
	v_dual_fmac_f32 v157, 0x3f575c64, v35 :: v_dual_add_f32 v128, v168, v130
	v_fma_f32 v130, 0xbf27a4f4, v34, -v169
	v_mul_f32_e32 v175, 0x3e903f40, v110
	v_add_f32_e32 v94, v96, v94
	v_add_f32_e32 v96, v32, v100
	v_sub_f32_e32 v116, v144, v116
	v_dual_add_f32 v130, v32, v130 :: v_dual_mul_f32 v165, 0xbf0a6770, v125
	s_delay_alu instid0(VALU_DEP_4) | instskip(NEXT) | instid1(VALU_DEP_4)
	v_dual_mul_f32 v125, 0x3f68dda4, v125 :: v_dual_add_f32 v90, v94, v90
	v_add_f32_e32 v94, v96, v99
	s_delay_alu instid0(VALU_DEP_3) | instskip(SKIP_2) | instid1(VALU_DEP_3)
	v_dual_sub_f32 v99, v136, v103 :: v_dual_fmamk_f32 v164, v39, 0x3f575c64, v165
	v_dual_mul_f32 v149, 0xbe11bafb, v44 :: v_dual_mul_f32 v150, 0xbe11bafb, v46
	v_dual_add_f32 v98, v107, v133 :: v_dual_fmac_f32 v163, 0x3ed4b147, v44
	v_dual_add_f32 v161, v164, v161 :: v_dual_fmamk_f32 v164, v46, 0xbf75a155, v167
	v_mul_f32_e32 v168, 0x3f7d64f0, v110
	v_dual_mul_f32 v141, 0xbe11bafb, v38 :: v_dual_mul_f32 v142, 0xbe11bafb, v39
	s_delay_alu instid0(VALU_DEP_3) | instskip(NEXT) | instid1(VALU_DEP_3)
	v_dual_fmac_f32 v154, 0xbf75a155, v34 :: v_dual_add_f32 v131, v164, v161
	v_fma_f32 v164, 0xbe11bafb, v35, -v168
	v_sub_f32_e32 v73, v146, v73
	v_dual_add_f32 v117, v117, v150 :: v_dual_fmac_f32 v168, 0xbe11bafb, v35
	v_fmac_f32_e32 v160, 0xbf27a4f4, v38
	s_delay_alu instid0(VALU_DEP_4) | instskip(SKIP_4) | instid1(VALU_DEP_4)
	v_add_f32_e32 v130, v164, v130
	v_fma_f32 v164, 0x3f575c64, v38, -v170
	v_fmac_f32_e32 v170, 0x3f575c64, v38
	v_add_f32_e32 v74, v74, v153
	v_dual_fmac_f32 v166, 0xbe11bafb, v47 :: v_dual_add_f32 v89, v90, v89
	v_add_f32_e32 v130, v164, v130
	v_fma_f32 v164, 0xbf75a155, v44, -v173
	v_dual_mul_f32 v161, 0x3f68dda4, v127 :: v_dual_sub_f32 v100, v132, v105
	v_fmac_f32_e32 v169, 0xbf27a4f4, v34
	s_delay_alu instid0(VALU_DEP_3) | instskip(NEXT) | instid1(VALU_DEP_3)
	v_dual_add_f32 v105, v106, v137 :: v_dual_add_f32 v130, v164, v130
	v_dual_fmamk_f32 v171, v48, 0x3ed4b147, v161 :: v_dual_add_f32 v118, v118, v120
	s_delay_alu instid0(VALU_DEP_4) | instskip(SKIP_1) | instid1(VALU_DEP_3)
	v_add_f32_e32 v96, v32, v100
	v_mul_f32_e32 v164, 0xbf7d64f0, v108
	v_dual_add_f32 v88, v89, v88 :: v_dual_add_f32 v131, v171, v131
	v_add_f32_e32 v171, v174, v172
	v_mul_f32_e32 v174, 0x3f68dda4, v112
	v_mul_f32_e32 v112, 0xbf4178ce, v112
	v_fmamk_f32 v172, v39, 0x3ed4b147, v125
	v_add_f32_e32 v96, v99, v96
	v_add_f32_e32 v116, v116, v118
	v_fma_f32 v110, 0x3ed4b147, v47, -v174
	v_fma_f32 v118, 0xbf27a4f4, v47, -v112
	v_mul_f32_e32 v126, 0xbf0a6770, v126
	v_add_f32_e32 v108, v172, v171
	v_fma_f32 v172, 0xbe11bafb, v34, -v164
	v_add_f32_e32 v130, v110, v130
	v_fmac_f32_e32 v164, 0xbe11bafb, v34
	v_dual_fmamk_f32 v171, v46, 0x3f575c64, v126 :: v_dual_add_f32 v34, v32, v169
	s_delay_alu instid0(VALU_DEP_4) | instskip(SKIP_2) | instid1(VALU_DEP_4)
	v_add_f32_e32 v172, v32, v172
	v_fmac_f32_e32 v174, 0x3ed4b147, v47
	v_fmac_f32_e32 v112, 0xbf27a4f4, v47
	v_dual_add_f32 v108, v171, v108 :: v_dual_mul_f32 v127, 0xbf4178ce, v127
	v_dual_fmac_f32 v173, 0xbf75a155, v44 :: v_dual_add_f32 v34, v168, v34
	v_add_f32_e32 v87, v88, v87
	s_delay_alu instid0(VALU_DEP_2) | instskip(NEXT) | instid1(VALU_DEP_2)
	v_dual_fmamk_f32 v171, v48, 0xbf27a4f4, v127 :: v_dual_add_f32 v34, v170, v34
	v_add_f32_e32 v86, v87, v86
	s_delay_alu instid0(VALU_DEP_2)
	v_add_f32_e32 v110, v171, v108
	v_add_f32_e32 v108, v124, v135
	v_fma_f32 v176, 0xbf75a155, v35, -v175
	v_mul_f32_e32 v113, 0x3f68dda4, v113
	v_fmac_f32_e32 v175, 0xbf75a155, v35
	v_fma_f32 v35, 0x3ed4b147, v39, -v125
	v_add_f32_e32 v108, v33, v108
	v_add_f32_e32 v124, v176, v172
	v_fma_f32 v134, 0x3ed4b147, v38, -v113
	v_dual_fmac_f32 v113, 0x3ed4b147, v38 :: v_dual_add_f32 v90, v94, v97
	s_delay_alu instid0(VALU_DEP_4) | instskip(SKIP_1) | instid1(VALU_DEP_4)
	v_add_f32_e32 v108, v121, v108
	v_add_f32_e32 v94, v104, v142
	v_dual_add_f32 v124, v134, v124 :: v_dual_sub_f32 v97, v141, v101
	s_delay_alu instid0(VALU_DEP_4)
	v_add_f32_e32 v89, v90, v95
	v_fma_f32 v134, 0x3f575c64, v44, -v111
	v_fmac_f32_e32 v111, 0x3f575c64, v44
	v_add_f32_e32 v85, v86, v85
	v_add_f32_e32 v95, v97, v96
	;; [unrolled: 1-line block ×3, first 2 shown]
	v_sub_f32_e32 v114, v149, v114
	v_add_f32_e32 v120, v134, v124
	v_add_f32_e32 v34, v173, v34
	;; [unrolled: 1-line block ×4, first 2 shown]
	v_fma_f32 v88, 0xbf75a155, v46, -v167
	v_add_f32_e32 v98, v33, v98
	s_delay_alu instid0(VALU_DEP_4) | instskip(NEXT) | instid1(VALU_DEP_4)
	v_dual_add_f32 v114, v114, v116 :: v_dual_add_f32 v73, v51, v73
	v_add_f32_e32 v86, v87, v91
	v_fma_f32 v87, 0xbf75a155, v36, -v138
	s_delay_alu instid0(VALU_DEP_4) | instskip(SKIP_1) | instid1(VALU_DEP_4)
	v_add_f32_e32 v98, v105, v98
	v_dual_sub_f32 v116, v155, v109 :: v_dual_add_f32 v51, v85, v84
	v_add_f32_e32 v50, v86, v50
	s_delay_alu instid0(VALU_DEP_4) | instskip(NEXT) | instid1(VALU_DEP_4)
	v_add_f32_e32 v84, v33, v87
	v_add_f32_e32 v90, v94, v98
	v_add_f32_e32 v94, v102, v148
	s_delay_alu instid0(VALU_DEP_4) | instskip(SKIP_2) | instid1(VALU_DEP_3)
	v_dual_add_f32 v108, v119, v108 :: v_dual_add_f32 v49, v50, v49
	v_fma_f32 v50, 0xbf27a4f4, v36, -v159
	v_fma_f32 v36, 0xbe11bafb, v36, -v115
	v_dual_add_f32 v89, v94, v90 :: v_dual_add_f32 v108, v117, v108
	v_add_f32_e32 v117, v123, v156
	v_fma_f32 v85, 0x3f575c64, v37, -v143
	v_add_f32_e32 v86, v32, v154
	v_add_f32_e32 v50, v33, v50
	v_fma_f32 v87, 0xbe11bafb, v37, -v162
	v_add_f32_e32 v108, v117, v108
	;; [unrolled: 3-line block ×4, first 2 shown]
	v_add_f32_e32 v50, v87, v50
	v_fma_f32 v87, 0x3f575c64, v39, -v165
	v_dual_add_f32 v33, v36, v33 :: v_dual_add_f32 v32, v175, v32
	v_add_f32_e32 v84, v85, v84
	v_fma_f32 v85, 0x3ed4b147, v46, -v151
	v_dual_add_f32 v86, v160, v86 :: v_dual_add_f32 v109, v118, v120
	v_add_f32_e32 v87, v87, v50
	v_add_f32_e32 v33, v35, v33
	v_fma_f32 v35, 0x3f575c64, v46, -v126
	v_add_f32_e32 v32, v113, v32
	v_add_f32_e32 v84, v85, v84
	v_fma_f32 v85, 0xbe11bafb, v48, -v158
	v_add_f32_e32 v86, v163, v86
	v_dual_add_f32 v50, v49, v45 :: v_dual_add_f32 v45, v88, v87
	v_fma_f32 v49, 0x3ed4b147, v48, -v161
	v_add_f32_e32 v35, v35, v33
	v_fma_f32 v36, 0xbf27a4f4, v48, -v127
	v_add_f32_e32 v37, v111, v32
	v_dual_add_f32 v107, v116, v114 :: v_dual_add_f32 v74, v74, v89
	v_lshl_add_u32 v38, v75, 3, v77
	v_dual_add_f32 v85, v85, v84 :: v_dual_add_f32 v84, v166, v86
	v_dual_add_f32 v33, v49, v45 :: v_dual_add_f32 v32, v174, v34
	v_add_f32_e32 v35, v36, v35
	v_add_f32_e32 v34, v112, v37
	ds_store_b64 v76, v[50:51]
	ds_store_2addr_b64 v38, v[73:74], v[107:108] offset0:9 offset1:18
	ds_store_2addr_b64 v38, v[109:110], v[130:131] offset0:27 offset1:36
	;; [unrolled: 1-line block ×5, first 2 shown]
.LBB0_5:
	s_wait_alu 0xfffe
	s_or_b32 exec_lo, exec_lo, s0
	global_wb scope:SCOPE_SE
	s_wait_dscnt 0x0
	s_barrier_signal -1
	s_barrier_wait -1
	global_inv scope:SCOPE_SE
	global_load_b64 v[71:72], v[71:72], off offset:792
	v_lshlrev_b32_e32 v32, 3, v75
	s_add_nc_u64 s[0:1], s[8:9], 0x318
	s_clause 0x7
	global_load_b64 v[73:74], v32, s[0:1] offset:264
	global_load_b64 v[84:85], v32, s[0:1] offset:528
	;; [unrolled: 1-line block ×8, first 2 shown]
	ds_load_2addr_b64 v[32:35], v76 offset1:11
	ds_load_2addr_b64 v[36:39], v76 offset0:22 offset1:33
	ds_load_2addr_b64 v[44:47], v76 offset0:66 offset1:77
	;; [unrolled: 1-line block ×3, first 2 shown]
	ds_load_b64 v[98:99], v76 offset:704
	s_wait_loadcnt_dscnt 0x804
	v_mul_f32_e32 v100, v33, v72
	s_wait_loadcnt 0x5
	v_dual_mul_f32 v101, v32, v72 :: v_dual_mul_f32 v102, v35, v87
	s_wait_dscnt 0x2
	v_mul_f32_e32 v72, v44, v85
	s_wait_loadcnt 0x2
	v_dual_mul_f32 v104, v47, v91 :: v_dual_mul_f32 v105, v37, v93
	v_fma_f32 v100, v32, v71, -v100
	v_dual_mul_f32 v32, v39, v74 :: v_dual_fmac_f32 v101, v33, v71
	v_mul_f32_e32 v33, v38, v74
	v_dual_mul_f32 v71, v45, v85 :: v_dual_mul_f32 v74, v34, v87
	s_wait_dscnt 0x1
	v_mul_f32_e32 v103, v49, v89
	s_wait_loadcnt 0x0
	v_dual_mul_f32 v87, v46, v91 :: v_dual_mul_f32 v106, v51, v97
	v_mul_f32_e32 v85, v48, v89
	v_dual_mul_f32 v89, v36, v93 :: v_dual_fmac_f32 v72, v45, v84
	v_dual_mul_f32 v91, v50, v97 :: v_dual_fmac_f32 v74, v35, v86
	s_wait_dscnt 0x0
	v_mul_f32_e32 v97, v99, v95
	v_mul_f32_e32 v93, v98, v95
	v_fma_f32 v32, v38, v73, -v32
	v_fmac_f32_e32 v33, v39, v73
	v_fma_f32 v73, v34, v86, -v102
	v_fma_f32 v71, v44, v84, -v71
	;; [unrolled: 1-line block ×3, first 2 shown]
	v_fmac_f32_e32 v87, v47, v90
	v_fma_f32 v84, v48, v88, -v103
	v_fmac_f32_e32 v85, v49, v88
	v_fma_f32 v88, v36, v92, -v105
	;; [unrolled: 2-line block ×4, first 2 shown]
	v_fmac_f32_e32 v93, v99, v94
	ds_store_2addr_b64 v76, v[100:101], v[73:74] offset1:11
	ds_store_2addr_b64 v76, v[71:72], v[86:87] offset0:66 offset1:77
	ds_store_2addr_b64 v76, v[88:89], v[32:33] offset0:22 offset1:33
	;; [unrolled: 1-line block ×3, first 2 shown]
	ds_store_b64 v76, v[92:93] offset:704
	global_wb scope:SCOPE_SE
	s_wait_dscnt 0x0
	s_barrier_signal -1
	s_barrier_wait -1
	global_inv scope:SCOPE_SE
	ds_load_2addr_b64 v[32:35], v76 offset1:11
	ds_load_2addr_b64 v[36:39], v76 offset0:22 offset1:33
	ds_load_2addr_b64 v[44:47], v76 offset0:66 offset1:77
	;; [unrolled: 1-line block ×3, first 2 shown]
	ds_load_b64 v[71:72], v76 offset:704
	global_wb scope:SCOPE_SE
	s_wait_dscnt 0x0
	s_barrier_signal -1
	s_barrier_wait -1
	global_inv scope:SCOPE_SE
	v_dual_add_f32 v73, v32, v38 :: v_dual_add_f32 v74, v38, v44
	v_add_f32_e32 v88, v34, v48
	v_dual_sub_f32 v94, v51, v72 :: v_dual_add_f32 v89, v48, v46
	v_sub_f32_e32 v90, v49, v47
	v_sub_f32_e32 v92, v48, v46
	v_dual_add_f32 v48, v36, v50 :: v_dual_sub_f32 v87, v38, v44
	v_add_f32_e32 v38, v73, v44
	v_fma_f32 v34, -0.5, v89, v34
	v_dual_add_f32 v93, v50, v71 :: v_dual_add_f32 v86, v39, v45
	v_sub_f32_e32 v84, v39, v45
	v_fma_f32 v32, -0.5, v74, v32
	v_add_f32_e32 v91, v35, v49
	v_add_f32_e32 v49, v49, v47
	v_add_f32_e32 v95, v37, v51
	v_sub_f32_e32 v96, v50, v71
	v_fmamk_f32 v50, v90, 0xbf5db3d7, v34
	v_fmac_f32_e32 v34, 0x3f5db3d7, v90
	v_fma_f32 v36, -0.5, v93, v36
	v_add_f32_e32 v51, v51, v72
	v_dual_add_f32 v85, v33, v39 :: v_dual_add_f32 v44, v88, v46
	v_fma_f32 v33, -0.5, v86, v33
	v_add_f32_e32 v46, v48, v71
	v_fmamk_f32 v48, v84, 0xbf5db3d7, v32
	v_dual_fmac_f32 v32, 0x3f5db3d7, v84 :: v_dual_fmac_f32 v35, -0.5, v49
	v_fmamk_f32 v71, v94, 0xbf5db3d7, v36
	v_dual_fmac_f32 v36, 0x3f5db3d7, v94 :: v_dual_fmac_f32 v37, -0.5, v51
	v_add_f32_e32 v39, v85, v45
	v_fmamk_f32 v49, v87, 0x3f5db3d7, v33
	v_fmac_f32_e32 v33, 0xbf5db3d7, v87
	v_add_f32_e32 v45, v91, v47
	v_fmamk_f32 v51, v92, 0x3f5db3d7, v35
	v_fmac_f32_e32 v35, 0xbf5db3d7, v92
	v_dual_add_f32 v47, v95, v72 :: v_dual_fmamk_f32 v72, v96, 0x3f5db3d7, v37
	v_fmac_f32_e32 v37, 0xbf5db3d7, v96
	ds_store_2addr_b64 v82, v[38:39], v[48:49] offset1:1
	ds_store_b64 v82, v[32:33] offset:16
	ds_store_2addr_b64 v81, v[44:45], v[50:51] offset1:1
	ds_store_b64 v81, v[34:35] offset:16
	;; [unrolled: 2-line block ×3, first 2 shown]
	global_wb scope:SCOPE_SE
	s_wait_dscnt 0x0
	s_barrier_signal -1
	s_barrier_wait -1
	global_inv scope:SCOPE_SE
	ds_load_2addr_b64 v[36:39], v76 offset0:22 offset1:33
	ds_load_2addr_b64 v[44:47], v76 offset0:66 offset1:77
	;; [unrolled: 1-line block ×3, first 2 shown]
	ds_load_b64 v[71:72], v76 offset:704
	ds_load_2addr_b64 v[32:35], v76 offset1:11
	global_wb scope:SCOPE_SE
	s_wait_dscnt 0x0
	s_barrier_signal -1
	s_barrier_wait -1
	global_inv scope:SCOPE_SE
	v_mul_f32_e32 v74, v11, v45
	v_mul_f32_e32 v82, v1, v51
	;; [unrolled: 1-line block ×3, first 2 shown]
	s_delay_alu instid0(VALU_DEP_3) | instskip(NEXT) | instid1(VALU_DEP_3)
	v_dual_mul_f32 v3, v3, v71 :: v_dual_fmac_f32 v74, v10, v44
	v_fmac_f32_e32 v82, v0, v50
	s_delay_alu instid0(VALU_DEP_3) | instskip(SKIP_1) | instid1(VALU_DEP_4)
	v_dual_fmac_f32 v84, v2, v71 :: v_dual_mul_f32 v1, v1, v50
	v_mul_f32_e32 v79, v5, v49
	v_fma_f32 v2, v2, v72, -v3
	s_delay_alu instid0(VALU_DEP_3) | instskip(NEXT) | instid1(VALU_DEP_4)
	v_sub_f32_e32 v71, v82, v84
	v_fma_f32 v0, v0, v51, -v1
	v_mul_f32_e32 v81, v7, v47
	v_mul_f32_e32 v7, v7, v46
	v_fmac_f32_e32 v79, v4, v48
	s_delay_alu instid0(VALU_DEP_3) | instskip(SKIP_2) | instid1(VALU_DEP_3)
	v_dual_add_f32 v50, v37, v0 :: v_dual_fmac_f32 v81, v6, v46
	v_mul_f32_e32 v5, v5, v48
	v_dual_add_f32 v48, v82, v84 :: v_dual_add_f32 v51, v0, v2
	v_sub_f32_e32 v46, v79, v81
	s_delay_alu instid0(VALU_DEP_3)
	v_fma_f32 v4, v4, v49, -v5
	v_fma_f32 v5, v6, v47, -v7
	v_mul_f32_e32 v73, v9, v39
	v_mul_f32_e32 v9, v9, v38
	v_add_f32_e32 v47, v36, v82
	v_sub_f32_e32 v49, v0, v2
	v_fma_f32 v36, -0.5, v48, v36
	v_fmac_f32_e32 v73, v8, v38
	v_fma_f32 v8, v8, v39, -v9
	v_fmac_f32_e32 v37, -0.5, v51
	s_delay_alu instid0(VALU_DEP_3) | instskip(SKIP_3) | instid1(VALU_DEP_4)
	v_add_f32_e32 v1, v32, v73
	v_mul_f32_e32 v11, v11, v44
	v_add_f32_e32 v3, v73, v74
	v_dual_add_f32 v7, v33, v8 :: v_dual_sub_f32 v44, v4, v5
	v_add_f32_e32 v0, v1, v74
	s_delay_alu instid0(VALU_DEP_4) | instskip(SKIP_2) | instid1(VALU_DEP_3)
	v_fma_f32 v9, v10, v45, -v11
	v_add_f32_e32 v11, v34, v79
	v_dual_add_f32 v45, v35, v4 :: v_dual_add_f32 v4, v4, v5
	v_sub_f32_e32 v6, v8, v9
	v_add_f32_e32 v10, v8, v9
	v_fma_f32 v8, -0.5, v3, v32
	v_add_f32_e32 v1, v7, v9
	v_fmac_f32_e32 v35, -0.5, v4
	v_add_f32_e32 v4, v47, v84
	v_fma_f32 v9, -0.5, v10, v33
	v_add_f32_e32 v10, v11, v81
	v_add_f32_e32 v11, v45, v5
	;; [unrolled: 1-line block ×3, first 2 shown]
	v_fmamk_f32 v2, v6, 0xbf5db3d7, v8
	v_fmac_f32_e32 v8, 0x3f5db3d7, v6
	v_fmamk_f32 v6, v49, 0xbf5db3d7, v36
	v_fmac_f32_e32 v36, 0x3f5db3d7, v49
	v_add_f32_e32 v39, v79, v81
	v_fmamk_f32 v33, v46, 0x3f5db3d7, v35
	v_fmac_f32_e32 v35, 0xbf5db3d7, v46
	v_fmamk_f32 v7, v71, 0x3f5db3d7, v37
	v_fmac_f32_e32 v37, 0xbf5db3d7, v71
	v_fma_f32 v34, -0.5, v39, v34
	s_delay_alu instid0(VALU_DEP_1) | instskip(SKIP_2) | instid1(VALU_DEP_1)
	v_fmamk_f32 v32, v44, 0xbf5db3d7, v34
	v_fmac_f32_e32 v34, 0x3f5db3d7, v44
	v_sub_f32_e32 v38, v73, v74
	v_fmamk_f32 v3, v38, 0x3f5db3d7, v9
	v_fmac_f32_e32 v9, 0xbf5db3d7, v38
	ds_store_2addr_b64 v83, v[0:1], v[2:3] offset1:3
	ds_store_b64 v83, v[8:9] offset:48
	ds_store_2addr_b64 v80, v[10:11], v[32:33] offset1:3
	ds_store_b64 v80, v[34:35] offset:48
	;; [unrolled: 2-line block ×3, first 2 shown]
	global_wb scope:SCOPE_SE
	s_wait_dscnt 0x0
	s_barrier_signal -1
	s_barrier_wait -1
	global_inv scope:SCOPE_SE
	s_and_saveexec_b32 s0, vcc_lo
	s_cbranch_execz .LBB0_7
; %bb.6:
	ds_load_2addr_b64 v[36:39], v76 offset0:72 offset1:81
	ds_load_2addr_b64 v[0:3], v76 offset1:9
	ds_load_2addr_b64 v[8:11], v76 offset0:18 offset1:27
	ds_load_2addr_b64 v[32:35], v76 offset0:36 offset1:45
	;; [unrolled: 1-line block ×3, first 2 shown]
	ds_load_b64 v[40:41], v76 offset:720
	s_wait_dscnt 0x5
	v_dual_mov_b32 v42, v38 :: v_dual_mov_b32 v43, v39
.LBB0_7:
	s_wait_alu 0xfffe
	s_or_b32 exec_lo, exec_lo, s0
	s_and_saveexec_b32 s0, vcc_lo
	s_cbranch_execz .LBB0_9
; %bb.8:
	s_wait_dscnt 0x0
	v_dual_mul_f32 v38, v31, v40 :: v_dual_mul_f32 v39, v25, v2
	v_dual_mul_f32 v44, v29, v42 :: v_dual_mul_f32 v45, v27, v8
	v_mul_f32_e32 v31, v31, v41
	s_delay_alu instid0(VALU_DEP_3) | instskip(NEXT) | instid1(VALU_DEP_4)
	v_fma_f32 v38, v30, v41, -v38
	v_fma_f32 v39, v24, v3, -v39
	s_delay_alu instid0(VALU_DEP_4) | instskip(SKIP_3) | instid1(VALU_DEP_3)
	v_fma_f32 v41, v28, v43, -v44
	v_fma_f32 v44, v26, v9, -v45
	v_mul_f32_e32 v27, v27, v9
	v_mul_f32_e32 v29, v29, v43
	v_add_f32_e32 v9, v41, v44
	v_add_f32_e32 v45, v38, v39
	s_delay_alu instid0(VALU_DEP_4) | instskip(NEXT) | instid1(VALU_DEP_4)
	v_fmac_f32_e32 v27, v26, v8
	v_fmac_f32_e32 v29, v28, v42
	v_sub_f32_e32 v49, v44, v41
	v_dual_mul_f32 v28, 0x3f575c64, v9 :: v_dual_mul_f32 v25, v25, v3
	v_sub_f32_e32 v42, v39, v38
	v_mul_f32_e32 v78, 0xbf27a4f4, v45
	s_delay_alu instid0(VALU_DEP_4)
	v_mul_f32_e32 v50, 0x3f0a6770, v49
	v_add_f32_e32 v39, v39, v1
	v_dual_fmac_f32 v25, v24, v2 :: v_dual_sub_f32 v2, v27, v29
	v_mul_f32_e32 v24, 0xbf75a155, v45
	v_mul_f32_e32 v47, 0xbe903f40, v42
	v_mul_f32_e32 v83, 0xbf4178ce, v42
	v_mul_f32_e32 v90, 0xbe11bafb, v45
	v_fmamk_f32 v8, v2, 0xbf0a6770, v28
	v_dual_fmac_f32 v31, v30, v40 :: v_dual_mul_f32 v40, v21, v10
	v_mul_f32_e32 v30, v19, v36
	v_mul_f32_e32 v19, v19, v37
	;; [unrolled: 1-line block ×3, first 2 shown]
	s_delay_alu instid0(VALU_DEP_4)
	v_sub_f32_e32 v26, v25, v31
	v_add_f32_e32 v46, v31, v25
	v_fma_f32 v30, v18, v37, -v30
	v_fmac_f32_e32 v19, v18, v36
	v_add_f32_e32 v25, v0, v25
	v_fmamk_f32 v3, v26, 0x3e903f40, v24
	v_dual_add_f32 v39, v44, v39 :: v_dual_fmac_f32 v24, 0xbe903f40, v26
	s_delay_alu instid0(VALU_DEP_2) | instskip(NEXT) | instid1(VALU_DEP_1)
	v_dual_fmac_f32 v28, 0x3f0a6770, v2 :: v_dual_add_f32 v3, v1, v3
	v_dual_add_f32 v3, v8, v3 :: v_dual_mul_f32 v8, v17, v6
	v_mul_f32_e32 v17, v17, v7
	s_delay_alu instid0(VALU_DEP_2) | instskip(SKIP_2) | instid1(VALU_DEP_2)
	v_fma_f32 v18, v16, v7, -v8
	v_mul_f32_e32 v8, v13, v34
	v_mul_f32_e32 v13, v13, v35
	v_fma_f32 v43, v12, v35, -v8
	s_delay_alu instid0(VALU_DEP_2) | instskip(SKIP_4) | instid1(VALU_DEP_3)
	v_fmac_f32_e32 v13, v12, v34
	v_dual_fmac_f32 v17, v16, v6 :: v_dual_mul_f32 v6, v15, v4
	v_mul_f32_e32 v15, v15, v5
	v_mul_f32_e32 v37, v23, v32
	v_dual_mul_f32 v23, v23, v33 :: v_dual_fmamk_f32 v8, v46, 0xbf27a4f4, v83
	v_fmac_f32_e32 v15, v14, v4
	s_delay_alu instid0(VALU_DEP_2) | instskip(SKIP_1) | instid1(VALU_DEP_3)
	v_fmac_f32_e32 v23, v22, v32
	v_fma_f32 v32, v14, v5, -v6
	v_dual_fmamk_f32 v5, v46, 0xbf75a155, v47 :: v_dual_sub_f32 v72, v13, v15
	v_mul_f32_e32 v21, v21, v11
	v_fma_f32 v11, v20, v11, -v40
	s_delay_alu instid0(VALU_DEP_4) | instskip(NEXT) | instid1(VALU_DEP_4)
	v_add_f32_e32 v48, v32, v43
	v_add_f32_e32 v4, v0, v5
	;; [unrolled: 1-line block ×3, first 2 shown]
	s_delay_alu instid0(VALU_DEP_4) | instskip(SKIP_3) | instid1(VALU_DEP_4)
	v_dual_fmac_f32 v21, v20, v10 :: v_dual_add_f32 v40, v30, v11
	v_fma_f32 v20, v22, v33, -v37
	v_sub_f32_e32 v12, v11, v30
	v_mul_f32_e32 v104, 0xbf27a4f4, v9
	v_dual_add_f32 v34, v19, v21 :: v_dual_mul_f32 v33, 0xbf27a4f4, v40
	s_delay_alu instid0(VALU_DEP_4) | instskip(NEXT) | instid1(VALU_DEP_4)
	v_dual_add_f32 v37, v18, v20 :: v_dual_sub_f32 v22, v23, v17
	v_dual_sub_f32 v14, v20, v18 :: v_dual_mul_f32 v87, 0xbf0a6770, v12
	s_delay_alu instid0(VALU_DEP_2) | instskip(SKIP_3) | instid1(VALU_DEP_4)
	v_dual_sub_f32 v79, v43, v32 :: v_dual_mul_f32 v108, 0xbe11bafb, v37
	v_dual_mul_f32 v93, 0xbf7d64f0, v42 :: v_dual_sub_f32 v36, v21, v19
	v_add_f32_e32 v35, v29, v27
	v_add_f32_e32 v73, v17, v23
	v_mul_f32_e32 v82, 0xbf7d64f0, v79
	v_mul_f32_e32 v112, 0x3f7d64f0, v14
	v_fmamk_f32 v95, v46, 0xbe11bafb, v93
	v_mul_f32_e32 v96, 0x3e903f40, v49
	v_mul_f32_e32 v99, 0x3f68dda4, v12
	;; [unrolled: 1-line block ×3, first 2 shown]
	v_dual_fmamk_f32 v5, v35, 0x3f575c64, v50 :: v_dual_mul_f32 v84, 0x3f575c64, v40
	v_add_f32_e32 v95, v0, v95
	v_dual_mul_f32 v91, 0xbf75a155, v9 :: v_dual_fmamk_f32 v98, v35, 0xbf75a155, v96
	s_delay_alu instid0(VALU_DEP_3) | instskip(SKIP_1) | instid1(VALU_DEP_3)
	v_dual_fmamk_f32 v7, v36, 0x3f4178ce, v33 :: v_dual_add_f32 v4, v5, v4
	v_mul_f32_e32 v51, 0xbf4178ce, v12
	v_dual_mul_f32 v100, 0xbf27a4f4, v48 :: v_dual_add_f32 v95, v98, v95
	v_fmamk_f32 v98, v34, 0x3ed4b147, v99
	v_mul_f32_e32 v101, 0xbf0a6770, v14
	v_dual_add_f32 v3, v7, v3 :: v_dual_mul_f32 v74, 0x3f68dda4, v14
	v_fmamk_f32 v6, v22, 0xbf68dda4, v16
	v_fmamk_f32 v5, v34, 0xbf27a4f4, v51
	v_mul_f32_e32 v97, 0x3f575c64, v37
	v_dual_add_f32 v95, v98, v95 :: v_dual_fmamk_f32 v98, v73, 0x3f575c64, v101
	v_mul_f32_e32 v85, 0x3f7d64f0, v49
	v_mul_f32_e32 v71, 0xbe11bafb, v48
	v_dual_add_f32 v3, v6, v3 :: v_dual_mul_f32 v88, 0x3ed4b147, v48
	v_dual_mul_f32 v86, 0xbf75a155, v37 :: v_dual_add_f32 v5, v5, v4
	s_delay_alu instid0(VALU_DEP_4) | instskip(NEXT) | instid1(VALU_DEP_4)
	v_fmamk_f32 v10, v35, 0xbe11bafb, v85
	v_fmamk_f32 v6, v72, 0x3f7d64f0, v71
	;; [unrolled: 1-line block ×3, first 2 shown]
	v_mul_f32_e32 v80, 0xbe11bafb, v9
	s_delay_alu instid0(VALU_DEP_4) | instskip(NEXT) | instid1(VALU_DEP_3)
	v_dual_fmamk_f32 v103, v72, 0x3f4178ce, v100 :: v_dual_add_f32 v8, v10, v8
	v_dual_add_f32 v4, v6, v3 :: v_dual_add_f32 v3, v7, v5
	v_fmamk_f32 v5, v26, 0x3f4178ce, v78
	s_delay_alu instid0(VALU_DEP_4) | instskip(SKIP_1) | instid1(VALU_DEP_3)
	v_fmamk_f32 v6, v2, 0xbf7d64f0, v80
	v_dual_fmamk_f32 v10, v34, 0x3f575c64, v87 :: v_dual_add_f32 v25, v27, v25
	v_dual_fmac_f32 v16, 0x3f68dda4, v22 :: v_dual_add_f32 v5, v1, v5
	v_mul_f32_e32 v92, 0x3f68dda4, v79
	v_mul_f32_e32 v89, 0xbe903f40, v14
	;; [unrolled: 1-line block ×3, first 2 shown]
	v_dual_add_f32 v21, v21, v25 :: v_dual_fmac_f32 v78, 0xbf4178ce, v26
	v_dual_add_f32 v5, v6, v5 :: v_dual_fmamk_f32 v6, v36, 0x3f0a6770, v84
	v_dual_add_f32 v81, v15, v13 :: v_dual_add_f32 v8, v10, v8
	v_dual_mul_f32 v110, 0x3e903f40, v12 :: v_dual_add_f32 v11, v11, v39
	v_mul_f32_e32 v39, 0xbf7d64f0, v12
	s_delay_alu instid0(VALU_DEP_3) | instskip(SKIP_4) | instid1(VALU_DEP_4)
	v_fmamk_f32 v7, v81, 0xbe11bafb, v82
	v_dual_fmamk_f32 v111, v81, 0xbf27a4f4, v105 :: v_dual_add_f32 v12, v23, v21
	v_dual_fmamk_f32 v10, v73, 0xbf75a155, v89 :: v_dual_add_f32 v5, v6, v5
	v_mul_f32_e32 v94, 0x3ed4b147, v40
	v_fmamk_f32 v6, v22, 0x3e903f40, v86
	v_dual_mul_f32 v107, 0xbf4178ce, v49 :: v_dual_add_f32 v12, v13, v12
	v_mul_f32_e32 v115, 0x3ed4b147, v9
	v_dual_add_f32 v11, v20, v11 :: v_dual_fmac_f32 v86, 0xbe903f40, v22
	s_delay_alu instid0(VALU_DEP_4) | instskip(NEXT) | instid1(VALU_DEP_4)
	v_dual_add_f32 v5, v6, v5 :: v_dual_fmamk_f32 v6, v72, 0xbf68dda4, v88
	v_add_f32_e32 v12, v15, v12
	v_add_f32_e32 v3, v7, v3
	v_dual_add_f32 v7, v10, v8 :: v_dual_fmamk_f32 v10, v81, 0x3ed4b147, v92
	s_delay_alu instid0(VALU_DEP_4) | instskip(NEXT) | instid1(VALU_DEP_4)
	v_dual_add_f32 v6, v6, v5 :: v_dual_fmamk_f32 v109, v35, 0xbf27a4f4, v107
	v_dual_add_f32 v12, v17, v12 :: v_dual_fmamk_f32 v5, v26, 0x3f7d64f0, v90
	v_fmamk_f32 v8, v2, 0xbe903f40, v91
	v_fmac_f32_e32 v90, 0xbf7d64f0, v26
	v_fmac_f32_e32 v91, 0x3e903f40, v2
	v_fmamk_f32 v23, v34, 0xbe11bafb, v39
	v_add_f32_e32 v5, v1, v5
	v_mul_f32_e32 v45, 0x3f575c64, v45
	v_mul_f32_e32 v21, 0xbf75a155, v48
	v_dual_mul_f32 v44, 0xbf68dda4, v49 :: v_dual_add_f32 v11, v43, v11
	s_delay_alu instid0(VALU_DEP_4)
	v_dual_fmac_f32 v88, 0x3f68dda4, v72 :: v_dual_add_f32 v5, v8, v5
	v_fmamk_f32 v8, v36, 0xbf68dda4, v94
	v_fmamk_f32 v114, v26, 0x3f0a6770, v45
	;; [unrolled: 1-line block ×4, first 2 shown]
	v_add_f32_e32 v11, v32, v11
	v_dual_add_f32 v5, v8, v5 :: v_dual_fmamk_f32 v8, v22, 0x3f0a6770, v97
	v_add_f32_e32 v114, v1, v114
	s_delay_alu instid0(VALU_DEP_3) | instskip(SKIP_1) | instid1(VALU_DEP_4)
	v_dual_fmac_f32 v80, 0x3f7d64f0, v2 :: v_dual_add_f32 v11, v18, v11
	v_fmac_f32_e32 v94, 0x3f68dda4, v36
	v_add_f32_e32 v8, v8, v5
	v_add_f32_e32 v18, v19, v12
	v_fmac_f32_e32 v71, 0xbf7d64f0, v72
	v_add_f32_e32 v11, v30, v11
	s_delay_alu instid0(VALU_DEP_4)
	v_dual_mul_f32 v37, 0xbf27a4f4, v37 :: v_dual_add_f32 v8, v103, v8
	v_mul_f32_e32 v103, 0xbf75a155, v40
	v_add_f32_e32 v5, v10, v7
	v_dual_add_f32 v10, v98, v95 :: v_dual_mul_f32 v95, 0xbf68dda4, v42
	v_mul_f32_e32 v42, 0xbf0a6770, v42
	v_fmamk_f32 v98, v2, 0x3f4178ce, v104
	v_fmac_f32_e32 v104, 0xbf4178ce, v2
	v_fmac_f32_e32 v97, 0xbf0a6770, v22
	v_fmamk_f32 v106, v46, 0x3ed4b147, v95
	v_fmamk_f32 v27, v46, 0x3f575c64, v42
	v_fmac_f32_e32 v115, 0xbf68dda4, v2
	v_fma_f32 v2, 0x3ed4b147, v35, -v44
	v_add_f32_e32 v19, v1, v78
	v_add_f32_e32 v106, v0, v106
	;; [unrolled: 1-line block ×3, first 2 shown]
	v_fmamk_f32 v27, v35, 0x3ed4b147, v44
	v_add_f32_e32 v17, v1, v24
	s_delay_alu instid0(VALU_DEP_4) | instskip(NEXT) | instid1(VALU_DEP_3)
	v_dual_add_f32 v19, v80, v19 :: v_dual_add_f32 v106, v109, v106
	v_dual_fmamk_f32 v109, v34, 0xbf75a155, v110 :: v_dual_add_f32 v20, v27, v25
	v_mul_f32_e32 v25, 0xbf4178ce, v14
	s_delay_alu instid0(VALU_DEP_4) | instskip(SKIP_1) | instid1(VALU_DEP_3)
	v_dual_add_f32 v17, v28, v17 :: v_dual_fmac_f32 v84, 0xbf0a6770, v36
	v_fma_f32 v24, 0xbf75a155, v73, -v89
	v_dual_add_f32 v14, v23, v20 :: v_dual_fmamk_f32 v15, v73, 0xbf27a4f4, v25
	v_mul_f32_e32 v113, 0x3f575c64, v48
	v_mul_f32_e32 v23, 0xbe903f40, v79
	v_fmac_f32_e32 v45, 0xbf0a6770, v26
	v_fmac_f32_e32 v100, 0xbf4178ce, v72
	s_delay_alu instid0(VALU_DEP_4)
	v_dual_add_f32 v14, v15, v14 :: v_dual_fmamk_f32 v9, v72, 0xbf0a6770, v113
	v_fmamk_f32 v7, v26, 0x3f68dda4, v102
	v_fmac_f32_e32 v102, 0xbf68dda4, v26
	v_fmamk_f32 v15, v81, 0xbf75a155, v23
	v_fma_f32 v26, 0x3f575c64, v46, -v42
	v_fmac_f32_e32 v33, 0xbf4178ce, v36
	v_add_f32_e32 v7, v1, v7
	v_add_f32_e32 v28, v1, v102
	v_fma_f32 v20, 0xbe11bafb, v35, -v85
	v_add_f32_e32 v19, v84, v19
	v_fma_f32 v27, 0x3ed4b147, v81, -v92
	v_dual_add_f32 v7, v98, v7 :: v_dual_fmamk_f32 v98, v36, 0xbe903f40, v103
	s_delay_alu instid0(VALU_DEP_3) | instskip(SKIP_1) | instid1(VALU_DEP_3)
	v_dual_add_f32 v28, v104, v28 :: v_dual_add_f32 v19, v86, v19
	v_fmac_f32_e32 v113, 0x3f0a6770, v72
	v_add_f32_e32 v7, v98, v7
	v_dual_fmamk_f32 v98, v22, 0xbf7d64f0, v108 :: v_dual_add_f32 v17, v33, v17
	v_fmac_f32_e32 v108, 0x3f7d64f0, v22
	s_delay_alu instid0(VALU_DEP_2) | instskip(SKIP_2) | instid1(VALU_DEP_2)
	v_dual_add_f32 v98, v98, v7 :: v_dual_add_f32 v7, v109, v106
	v_fmamk_f32 v106, v73, 0xbe11bafb, v112
	v_mul_f32_e32 v109, 0x3f0a6770, v79
	v_add_f32_e32 v106, v106, v7
	s_delay_alu instid0(VALU_DEP_2) | instskip(SKIP_3) | instid1(VALU_DEP_4)
	v_fmamk_f32 v116, v81, 0x3f575c64, v109
	v_dual_mul_f32 v40, 0xbe11bafb, v40 :: v_dual_add_f32 v7, v111, v10
	v_add_f32_e32 v10, v9, v98
	v_add_f32_e32 v98, v117, v114
	;; [unrolled: 1-line block ×3, first 2 shown]
	s_delay_alu instid0(VALU_DEP_4) | instskip(SKIP_2) | instid1(VALU_DEP_3)
	v_fmamk_f32 v106, v36, 0x3f7d64f0, v40
	v_fmac_f32_e32 v103, 0x3e903f40, v36
	v_fmac_f32_e32 v40, 0xbf7d64f0, v36
	v_add_f32_e32 v98, v106, v98
	v_fmamk_f32 v106, v22, 0x3f4178ce, v37
	s_delay_alu instid0(VALU_DEP_1) | instskip(NEXT) | instid1(VALU_DEP_1)
	v_dual_add_f32 v28, v103, v28 :: v_dual_add_f32 v49, v106, v98
	v_add_f32_e32 v12, v13, v49
	v_add_f32_e32 v13, v41, v11
	;; [unrolled: 1-line block ×4, first 2 shown]
	v_fma_f32 v18, 0xbf75a155, v46, -v47
	v_fma_f32 v29, 0xbf27a4f4, v81, -v105
	s_delay_alu instid0(VALU_DEP_3) | instskip(SKIP_1) | instid1(VALU_DEP_4)
	v_dual_add_f32 v14, v38, v13 :: v_dual_add_f32 v13, v31, v15
	v_add_f32_e32 v15, v16, v17
	v_add_f32_e32 v17, v0, v18
	v_fma_f32 v18, 0x3f575c64, v35, -v50
	s_delay_alu instid0(VALU_DEP_3) | instskip(SKIP_1) | instid1(VALU_DEP_3)
	v_add_f32_e32 v16, v71, v15
	v_fma_f32 v15, 0xbf27a4f4, v46, -v83
	v_add_f32_e32 v17, v18, v17
	v_fma_f32 v18, 0xbf27a4f4, v34, -v51
	v_fmac_f32_e32 v37, 0xbf4178ce, v22
	s_delay_alu instid0(VALU_DEP_4) | instskip(NEXT) | instid1(VALU_DEP_3)
	v_add_f32_e32 v15, v0, v15
	v_add_f32_e32 v17, v18, v17
	v_fma_f32 v18, 0x3ed4b147, v73, -v74
	s_delay_alu instid0(VALU_DEP_3) | instskip(SKIP_1) | instid1(VALU_DEP_3)
	v_add_f32_e32 v15, v20, v15
	v_fma_f32 v20, 0x3f575c64, v34, -v87
	v_add_f32_e32 v17, v18, v17
	v_fma_f32 v18, 0xbe11bafb, v81, -v82
	s_delay_alu instid0(VALU_DEP_1) | instskip(SKIP_2) | instid1(VALU_DEP_3)
	v_dual_add_f32 v20, v20, v15 :: v_dual_add_f32 v15, v18, v17
	v_fma_f32 v17, 0xbe11bafb, v46, -v93
	v_add_f32_e32 v18, v88, v19
	v_add_f32_e32 v19, v24, v20
	v_fma_f32 v24, 0xbf75a155, v35, -v96
	s_delay_alu instid0(VALU_DEP_4) | instskip(SKIP_2) | instid1(VALU_DEP_3)
	v_dual_add_f32 v20, v1, v90 :: v_dual_add_f32 v17, v0, v17
	v_add_f32_e32 v1, v1, v45
	v_fmac_f32_e32 v21, 0xbe903f40, v72
	v_dual_add_f32 v20, v91, v20 :: v_dual_add_f32 v17, v24, v17
	v_fma_f32 v24, 0x3ed4b147, v34, -v99
	s_delay_alu instid0(VALU_DEP_2) | instskip(NEXT) | instid1(VALU_DEP_2)
	v_dual_add_f32 v1, v115, v1 :: v_dual_add_f32 v20, v94, v20
	v_add_f32_e32 v17, v24, v17
	v_fma_f32 v24, 0x3f575c64, v73, -v101
	s_delay_alu instid0(VALU_DEP_3) | instskip(SKIP_1) | instid1(VALU_DEP_3)
	v_dual_add_f32 v1, v40, v1 :: v_dual_add_f32 v20, v97, v20
	v_fma_f32 v23, 0xbf75a155, v81, -v23
	v_dual_add_f32 v24, v24, v17 :: v_dual_add_f32 v17, v27, v19
	v_add_f32_e32 v27, v108, v28
	v_fma_f32 v28, 0xbf27a4f4, v35, -v107
	v_add_f32_e32 v20, v100, v20
	s_delay_alu instid0(VALU_DEP_4) | instskip(SKIP_1) | instid1(VALU_DEP_1)
	v_add_f32_e32 v19, v29, v24
	v_fma_f32 v24, 0x3ed4b147, v46, -v95
	v_add_f32_e32 v24, v0, v24
	v_add_f32_e32 v0, v0, v26
	v_fma_f32 v26, 0xbf75a155, v34, -v110
	s_delay_alu instid0(VALU_DEP_3) | instskip(NEXT) | instid1(VALU_DEP_3)
	v_add_f32_e32 v24, v28, v24
	v_add_f32_e32 v0, v2, v0
	v_fma_f32 v2, 0xbe11bafb, v34, -v39
	s_delay_alu instid0(VALU_DEP_3) | instskip(SKIP_1) | instid1(VALU_DEP_3)
	v_add_f32_e32 v24, v26, v24
	v_fma_f32 v26, 0xbe11bafb, v73, -v112
	v_add_f32_e32 v0, v2, v0
	v_fma_f32 v2, 0xbf27a4f4, v73, -v25
	v_add_f32_e32 v25, v37, v1
	s_delay_alu instid0(VALU_DEP_4) | instskip(SKIP_1) | instid1(VALU_DEP_4)
	v_dual_add_f32 v1, v113, v27 :: v_dual_add_f32 v22, v26, v24
	v_fma_f32 v24, 0x3f575c64, v81, -v109
	v_add_f32_e32 v2, v2, v0
	v_lshl_add_u32 v26, v75, 3, v77
	s_delay_alu instid0(VALU_DEP_3) | instskip(NEXT) | instid1(VALU_DEP_3)
	v_add_f32_e32 v0, v24, v22
	v_dual_add_f32 v22, v21, v25 :: v_dual_add_f32 v21, v23, v2
	ds_store_b64 v76, v[13:14]
	ds_store_2addr_b64 v26, v[11:12], v[9:10] offset0:9 offset1:18
	ds_store_2addr_b64 v26, v[7:8], v[5:6] offset0:27 offset1:36
	;; [unrolled: 1-line block ×5, first 2 shown]
.LBB0_9:
	s_wait_alu 0xfffe
	s_or_b32 exec_lo, exec_lo, s0
	global_wb scope:SCOPE_SE
	s_wait_dscnt 0x0
	s_barrier_signal -1
	s_barrier_wait -1
	global_inv scope:SCOPE_SE
	ds_load_2addr_b64 v[0:3], v76 offset1:11
	ds_load_2addr_b64 v[4:7], v76 offset0:22 offset1:33
	ds_load_2addr_b64 v[8:11], v76 offset0:66 offset1:77
	;; [unrolled: 1-line block ×3, first 2 shown]
	v_mad_co_u64_u32 v[16:17], null, s6, v52, 0
	v_mad_co_u64_u32 v[18:19], null, s4, v75, 0
	s_mov_b32 s0, 0xa052bf5b
	s_mov_b32 s1, 0x3f84afd6
	s_delay_alu instid0(VALU_DEP_1) | instskip(SKIP_1) | instid1(VALU_DEP_2)
	v_mad_co_u64_u32 v[40:41], null, s7, v52, v[17:18]
	s_wait_dscnt 0x3
	v_dual_mov_b32 v17, v19 :: v_dual_mul_f32 v20, v64, v1
	s_wait_dscnt 0x2
	v_mul_f32_e32 v23, v66, v6
	v_dual_mul_f32 v21, v64, v0 :: v_dual_mul_f32 v22, v66, v7
	s_wait_dscnt 0x1
	v_dual_mul_f32 v24, v68, v9 :: v_dual_mul_f32 v27, v70, v2
	v_dual_mul_f32 v25, v68, v8 :: v_dual_mul_f32 v26, v70, v3
	v_dual_fmac_f32 v20, v63, v0 :: v_dual_mul_f32 v33, v56, v10
	v_fma_f32 v21, v63, v1, -v21
	s_wait_dscnt 0x0
	v_dual_fmac_f32 v22, v65, v6 :: v_dual_mul_f32 v31, v58, v12
	v_fma_f32 v23, v65, v7, -v23
	v_dual_fmac_f32 v24, v67, v8 :: v_dual_mul_f32 v37, v60, v14
	v_fma_f32 v25, v67, v9, -v25
	v_fmac_f32_e32 v26, v69, v2
	v_cvt_f64_f32_e32 v[0:1], v20
	v_cvt_f64_f32_e32 v[6:7], v21
	;; [unrolled: 1-line block ×4, first 2 shown]
	v_fma_f32 v28, v69, v3, -v27
	v_cvt_f64_f32_e32 v[2:3], v24
	v_cvt_f64_f32_e32 v[22:23], v25
	;; [unrolled: 1-line block ×3, first 2 shown]
	ds_load_b64 v[26:27], v76 offset:704
	v_mul_f32_e32 v30, v58, v13
	v_mad_co_u64_u32 v[41:42], null, s5, v75, v[17:18]
	v_dual_mov_b32 v17, v40 :: v_dual_mul_f32 v34, v54, v5
	v_mul_f32_e32 v32, v56, v11
	v_mul_f32_e32 v36, v60, v15
	v_fma_f32 v33, v55, v11, -v33
	s_delay_alu instid0(VALU_DEP_4)
	v_lshlrev_b64_e32 v[16:17], 3, v[16:17]
	v_mov_b32_e32 v19, v41
	v_fmac_f32_e32 v34, v53, v4
	v_mul_f32_e32 v4, v54, v4
	v_fmac_f32_e32 v36, v59, v14
	v_fma_f32 v37, v59, v15, -v37
	v_add_co_u32 v40, vcc_lo, s2, v16
	s_mul_i32 s2, s5, 0xfffffe48
	v_fma_f32 v4, v53, v5, -v4
	s_wait_alu 0xfffe
	s_sub_co_i32 s2, s2, s4
	s_wait_dscnt 0x0
	v_mul_f32_e32 v39, v62, v26
	v_mul_f32_e32 v38, v62, v27
	v_fmac_f32_e32 v30, v57, v12
	v_fma_f32 v12, v57, v13, -v31
	v_fmac_f32_e32 v32, v55, v10
	v_fma_f32 v39, v61, v27, -v39
	v_fmac_f32_e32 v38, v61, v26
	v_cvt_f64_f32_e32 v[28:29], v28
	v_cvt_f64_f32_e32 v[10:11], v30
	v_cvt_f64_f32_e32 v[12:13], v12
	v_cvt_f64_f32_e32 v[30:31], v32
	v_cvt_f64_f32_e32 v[32:33], v33
	v_cvt_f64_f32_e32 v[34:35], v34
	v_cvt_f64_f32_e32 v[4:5], v4
	v_cvt_f64_f32_e32 v[14:15], v36
	v_cvt_f64_f32_e32 v[26:27], v37
	v_cvt_f64_f32_e32 v[36:37], v38
	v_cvt_f64_f32_e32 v[38:39], v39
	v_mul_f64_e32 v[0:1], s[0:1], v[0:1]
	v_mul_f64_e32 v[6:7], s[0:1], v[6:7]
	;; [unrolled: 1-line block ×7, first 2 shown]
	s_wait_alu 0xfffd
	v_add_co_ci_u32_e32 v41, vcc_lo, s3, v17, vcc_lo
	v_lshlrev_b64_e32 v[18:19], 3, v[18:19]
	s_delay_alu instid0(VALU_DEP_1) | instskip(SKIP_1) | instid1(VALU_DEP_2)
	v_add_co_u32 v18, vcc_lo, v40, v18
	s_wait_alu 0xfffd
	v_add_co_ci_u32_e32 v19, vcc_lo, v41, v19, vcc_lo
	v_mul_f64_e32 v[16:17], s[0:1], v[28:29]
	v_mul_f64_e32 v[10:11], s[0:1], v[10:11]
	;; [unrolled: 1-line block ×11, first 2 shown]
	s_mul_u64 s[0:1], s[4:5], 0x108
	v_cvt_f32_f64_e32 v0, v[0:1]
	s_wait_alu 0xfffe
	v_add_co_u32 v38, vcc_lo, v18, s0
	s_wait_alu 0xfffd
	v_add_co_ci_u32_e32 v39, vcc_lo, s1, v19, vcc_lo
	v_cvt_f32_f64_e32 v1, v[6:7]
	s_delay_alu instid0(VALU_DEP_3) | instskip(SKIP_1) | instid1(VALU_DEP_3)
	v_add_co_u32 v40, vcc_lo, v38, s0
	s_wait_alu 0xfffd
	v_add_co_ci_u32_e32 v41, vcc_lo, s1, v39, vcc_lo
	v_cvt_f32_f64_e32 v6, v[8:9]
	v_cvt_f32_f64_e32 v7, v[20:21]
	;; [unrolled: 1-line block ×3, first 2 shown]
	s_delay_alu instid0(VALU_DEP_4)
	v_mad_co_u64_u32 v[8:9], null, 0xfffffe48, s4, v[40:41]
	v_cvt_f32_f64_e32 v3, v[22:23]
	v_cvt_f32_f64_e32 v20, v[24:25]
	s_clause 0x1
	global_store_b64 v[18:19], v[0:1], off
	global_store_b64 v[38:39], v[6:7], off
	v_cvt_f32_f64_e32 v21, v[16:17]
	v_cvt_f32_f64_e32 v10, v[10:11]
	;; [unrolled: 1-line block ×9, first 2 shown]
	v_add_nc_u32_e32 v9, s2, v9
	v_cvt_f32_f64_e32 v14, v[34:35]
	v_cvt_f32_f64_e32 v15, v[36:37]
	v_add_co_u32 v22, vcc_lo, v8, s0
	s_wait_alu 0xfffd
	v_add_co_ci_u32_e32 v23, vcc_lo, s1, v9, vcc_lo
	global_store_b64 v[40:41], v[2:3], off
	v_add_co_u32 v24, vcc_lo, v22, s0
	s_wait_alu 0xfffd
	v_add_co_ci_u32_e32 v25, vcc_lo, s1, v23, vcc_lo
	s_delay_alu instid0(VALU_DEP_1) | instskip(NEXT) | instid1(VALU_DEP_1)
	v_mad_co_u64_u32 v[26:27], null, 0xfffffe48, s4, v[24:25]
	v_add_nc_u32_e32 v27, s2, v27
	s_delay_alu instid0(VALU_DEP_2) | instskip(SKIP_1) | instid1(VALU_DEP_2)
	v_add_co_u32 v0, vcc_lo, v26, s0
	s_wait_alu 0xfffd
	v_add_co_ci_u32_e32 v1, vcc_lo, s1, v27, vcc_lo
	s_delay_alu instid0(VALU_DEP_2)
	v_add_co_u32 v2, vcc_lo, v0, s0
	global_store_b64 v[8:9], v[20:21], off
	s_wait_alu 0xfffd
	v_add_co_ci_u32_e32 v3, vcc_lo, s1, v1, vcc_lo
	global_store_b64 v[22:23], v[10:11], off
	global_store_b64 v[24:25], v[12:13], off
	;; [unrolled: 1-line block ×5, first 2 shown]
.LBB0_10:
	s_nop 0
	s_sendmsg sendmsg(MSG_DEALLOC_VGPRS)
	s_endpgm
	.section	.rodata,"a",@progbits
	.p2align	6, 0x0
	.amdhsa_kernel bluestein_single_back_len99_dim1_sp_op_CI_CI
		.amdhsa_group_segment_fixed_size 15840
		.amdhsa_private_segment_fixed_size 0
		.amdhsa_kernarg_size 104
		.amdhsa_user_sgpr_count 2
		.amdhsa_user_sgpr_dispatch_ptr 0
		.amdhsa_user_sgpr_queue_ptr 0
		.amdhsa_user_sgpr_kernarg_segment_ptr 1
		.amdhsa_user_sgpr_dispatch_id 0
		.amdhsa_user_sgpr_private_segment_size 0
		.amdhsa_wavefront_size32 1
		.amdhsa_uses_dynamic_stack 0
		.amdhsa_enable_private_segment 0
		.amdhsa_system_sgpr_workgroup_id_x 1
		.amdhsa_system_sgpr_workgroup_id_y 0
		.amdhsa_system_sgpr_workgroup_id_z 0
		.amdhsa_system_sgpr_workgroup_info 0
		.amdhsa_system_vgpr_workitem_id 0
		.amdhsa_next_free_vgpr 177
		.amdhsa_next_free_sgpr 16
		.amdhsa_reserve_vcc 1
		.amdhsa_float_round_mode_32 0
		.amdhsa_float_round_mode_16_64 0
		.amdhsa_float_denorm_mode_32 3
		.amdhsa_float_denorm_mode_16_64 3
		.amdhsa_fp16_overflow 0
		.amdhsa_workgroup_processor_mode 1
		.amdhsa_memory_ordered 1
		.amdhsa_forward_progress 0
		.amdhsa_round_robin_scheduling 0
		.amdhsa_exception_fp_ieee_invalid_op 0
		.amdhsa_exception_fp_denorm_src 0
		.amdhsa_exception_fp_ieee_div_zero 0
		.amdhsa_exception_fp_ieee_overflow 0
		.amdhsa_exception_fp_ieee_underflow 0
		.amdhsa_exception_fp_ieee_inexact 0
		.amdhsa_exception_int_div_zero 0
	.end_amdhsa_kernel
	.text
.Lfunc_end0:
	.size	bluestein_single_back_len99_dim1_sp_op_CI_CI, .Lfunc_end0-bluestein_single_back_len99_dim1_sp_op_CI_CI
                                        ; -- End function
	.section	.AMDGPU.csdata,"",@progbits
; Kernel info:
; codeLenInByte = 9644
; NumSgprs: 18
; NumVgprs: 177
; ScratchSize: 0
; MemoryBound: 0
; FloatMode: 240
; IeeeMode: 1
; LDSByteSize: 15840 bytes/workgroup (compile time only)
; SGPRBlocks: 2
; VGPRBlocks: 22
; NumSGPRsForWavesPerEU: 18
; NumVGPRsForWavesPerEU: 177
; Occupancy: 8
; WaveLimiterHint : 1
; COMPUTE_PGM_RSRC2:SCRATCH_EN: 0
; COMPUTE_PGM_RSRC2:USER_SGPR: 2
; COMPUTE_PGM_RSRC2:TRAP_HANDLER: 0
; COMPUTE_PGM_RSRC2:TGID_X_EN: 1
; COMPUTE_PGM_RSRC2:TGID_Y_EN: 0
; COMPUTE_PGM_RSRC2:TGID_Z_EN: 0
; COMPUTE_PGM_RSRC2:TIDIG_COMP_CNT: 0
	.text
	.p2alignl 7, 3214868480
	.fill 96, 4, 3214868480
	.type	__hip_cuid_68804bd3f97287d5,@object ; @__hip_cuid_68804bd3f97287d5
	.section	.bss,"aw",@nobits
	.globl	__hip_cuid_68804bd3f97287d5
__hip_cuid_68804bd3f97287d5:
	.byte	0                               ; 0x0
	.size	__hip_cuid_68804bd3f97287d5, 1

	.ident	"AMD clang version 19.0.0git (https://github.com/RadeonOpenCompute/llvm-project roc-6.4.0 25133 c7fe45cf4b819c5991fe208aaa96edf142730f1d)"
	.section	".note.GNU-stack","",@progbits
	.addrsig
	.addrsig_sym __hip_cuid_68804bd3f97287d5
	.amdgpu_metadata
---
amdhsa.kernels:
  - .args:
      - .actual_access:  read_only
        .address_space:  global
        .offset:         0
        .size:           8
        .value_kind:     global_buffer
      - .actual_access:  read_only
        .address_space:  global
        .offset:         8
        .size:           8
        .value_kind:     global_buffer
      - .actual_access:  read_only
        .address_space:  global
        .offset:         16
        .size:           8
        .value_kind:     global_buffer
      - .actual_access:  read_only
        .address_space:  global
        .offset:         24
        .size:           8
        .value_kind:     global_buffer
      - .actual_access:  read_only
        .address_space:  global
        .offset:         32
        .size:           8
        .value_kind:     global_buffer
      - .offset:         40
        .size:           8
        .value_kind:     by_value
      - .address_space:  global
        .offset:         48
        .size:           8
        .value_kind:     global_buffer
      - .address_space:  global
        .offset:         56
        .size:           8
        .value_kind:     global_buffer
      - .address_space:  global
        .offset:         64
        .size:           8
        .value_kind:     global_buffer
      - .address_space:  global
        .offset:         72
        .size:           8
        .value_kind:     global_buffer
      - .offset:         80
        .size:           4
        .value_kind:     by_value
      - .address_space:  global
        .offset:         88
        .size:           8
        .value_kind:     global_buffer
      - .address_space:  global
        .offset:         96
        .size:           8
        .value_kind:     global_buffer
    .group_segment_fixed_size: 15840
    .kernarg_segment_align: 8
    .kernarg_segment_size: 104
    .language:       OpenCL C
    .language_version:
      - 2
      - 0
    .max_flat_workgroup_size: 220
    .name:           bluestein_single_back_len99_dim1_sp_op_CI_CI
    .private_segment_fixed_size: 0
    .sgpr_count:     18
    .sgpr_spill_count: 0
    .symbol:         bluestein_single_back_len99_dim1_sp_op_CI_CI.kd
    .uniform_work_group_size: 1
    .uses_dynamic_stack: false
    .vgpr_count:     177
    .vgpr_spill_count: 0
    .wavefront_size: 32
    .workgroup_processor_mode: 1
amdhsa.target:   amdgcn-amd-amdhsa--gfx1201
amdhsa.version:
  - 1
  - 2
...

	.end_amdgpu_metadata
